;; amdgpu-corpus repo=ROCm/rocFFT kind=compiled arch=gfx906 opt=O3
	.text
	.amdgcn_target "amdgcn-amd-amdhsa--gfx906"
	.amdhsa_code_object_version 6
	.protected	fft_rtc_back_len1372_factors_2_2_7_7_7_wgs_196_tpt_98_halfLds_half_ip_CI_unitstride_sbrr_R2C_dirReg ; -- Begin function fft_rtc_back_len1372_factors_2_2_7_7_7_wgs_196_tpt_98_halfLds_half_ip_CI_unitstride_sbrr_R2C_dirReg
	.globl	fft_rtc_back_len1372_factors_2_2_7_7_7_wgs_196_tpt_98_halfLds_half_ip_CI_unitstride_sbrr_R2C_dirReg
	.p2align	8
	.type	fft_rtc_back_len1372_factors_2_2_7_7_7_wgs_196_tpt_98_halfLds_half_ip_CI_unitstride_sbrr_R2C_dirReg,@function
fft_rtc_back_len1372_factors_2_2_7_7_7_wgs_196_tpt_98_halfLds_half_ip_CI_unitstride_sbrr_R2C_dirReg: ; @fft_rtc_back_len1372_factors_2_2_7_7_7_wgs_196_tpt_98_halfLds_half_ip_CI_unitstride_sbrr_R2C_dirReg
; %bb.0:
	s_load_dwordx2 s[12:13], s[4:5], 0x50
	s_load_dwordx4 s[8:11], s[4:5], 0x0
	s_load_dwordx2 s[2:3], s[4:5], 0x18
	v_mul_u32_u24_e32 v1, 0x29d, v0
	v_lshrrev_b32_e32 v9, 16, v1
	v_mov_b32_e32 v3, 0
	s_waitcnt lgkmcnt(0)
	v_cmp_lt_u64_e64 s[0:1], s[10:11], 2
	v_mov_b32_e32 v1, 0
	v_lshl_add_u32 v5, s6, 1, v9
	v_mov_b32_e32 v6, v3
	s_and_b64 vcc, exec, s[0:1]
	v_mov_b32_e32 v2, 0
	s_cbranch_vccnz .LBB0_8
; %bb.1:
	s_load_dwordx2 s[0:1], s[4:5], 0x10
	s_add_u32 s6, s2, 8
	s_addc_u32 s7, s3, 0
	v_mov_b32_e32 v1, 0
	v_mov_b32_e32 v2, 0
	s_waitcnt lgkmcnt(0)
	s_add_u32 s14, s0, 8
	s_addc_u32 s15, s1, 0
	s_mov_b64 s[16:17], 1
.LBB0_2:                                ; =>This Inner Loop Header: Depth=1
	s_load_dwordx2 s[18:19], s[14:15], 0x0
                                        ; implicit-def: $vgpr7_vgpr8
	s_waitcnt lgkmcnt(0)
	v_or_b32_e32 v4, s19, v6
	v_cmp_ne_u64_e32 vcc, 0, v[3:4]
	s_and_saveexec_b64 s[0:1], vcc
	s_xor_b64 s[20:21], exec, s[0:1]
	s_cbranch_execz .LBB0_4
; %bb.3:                                ;   in Loop: Header=BB0_2 Depth=1
	v_cvt_f32_u32_e32 v4, s18
	v_cvt_f32_u32_e32 v7, s19
	s_sub_u32 s0, 0, s18
	s_subb_u32 s1, 0, s19
	v_mac_f32_e32 v4, 0x4f800000, v7
	v_rcp_f32_e32 v4, v4
	v_mul_f32_e32 v4, 0x5f7ffffc, v4
	v_mul_f32_e32 v7, 0x2f800000, v4
	v_trunc_f32_e32 v7, v7
	v_mac_f32_e32 v4, 0xcf800000, v7
	v_cvt_u32_f32_e32 v7, v7
	v_cvt_u32_f32_e32 v4, v4
	v_mul_lo_u32 v8, s0, v7
	v_mul_hi_u32 v10, s0, v4
	v_mul_lo_u32 v12, s1, v4
	v_mul_lo_u32 v11, s0, v4
	v_add_u32_e32 v8, v10, v8
	v_add_u32_e32 v8, v8, v12
	v_mul_hi_u32 v10, v4, v11
	v_mul_lo_u32 v12, v4, v8
	v_mul_hi_u32 v14, v4, v8
	v_mul_hi_u32 v13, v7, v11
	v_mul_lo_u32 v11, v7, v11
	v_mul_hi_u32 v15, v7, v8
	v_add_co_u32_e32 v10, vcc, v10, v12
	v_addc_co_u32_e32 v12, vcc, 0, v14, vcc
	v_mul_lo_u32 v8, v7, v8
	v_add_co_u32_e32 v10, vcc, v10, v11
	v_addc_co_u32_e32 v10, vcc, v12, v13, vcc
	v_addc_co_u32_e32 v11, vcc, 0, v15, vcc
	v_add_co_u32_e32 v8, vcc, v10, v8
	v_addc_co_u32_e32 v10, vcc, 0, v11, vcc
	v_add_co_u32_e32 v4, vcc, v4, v8
	v_addc_co_u32_e32 v7, vcc, v7, v10, vcc
	v_mul_lo_u32 v8, s0, v7
	v_mul_hi_u32 v10, s0, v4
	v_mul_lo_u32 v11, s1, v4
	v_mul_lo_u32 v12, s0, v4
	v_add_u32_e32 v8, v10, v8
	v_add_u32_e32 v8, v8, v11
	v_mul_lo_u32 v13, v4, v8
	v_mul_hi_u32 v14, v4, v12
	v_mul_hi_u32 v15, v4, v8
	;; [unrolled: 1-line block ×3, first 2 shown]
	v_mul_lo_u32 v12, v7, v12
	v_mul_hi_u32 v10, v7, v8
	v_add_co_u32_e32 v13, vcc, v14, v13
	v_addc_co_u32_e32 v14, vcc, 0, v15, vcc
	v_mul_lo_u32 v8, v7, v8
	v_add_co_u32_e32 v12, vcc, v13, v12
	v_addc_co_u32_e32 v11, vcc, v14, v11, vcc
	v_addc_co_u32_e32 v10, vcc, 0, v10, vcc
	v_add_co_u32_e32 v8, vcc, v11, v8
	v_addc_co_u32_e32 v10, vcc, 0, v10, vcc
	v_add_co_u32_e32 v4, vcc, v4, v8
	v_addc_co_u32_e32 v10, vcc, v7, v10, vcc
	v_mad_u64_u32 v[7:8], s[0:1], v5, v10, 0
	v_mul_hi_u32 v11, v5, v4
	v_add_co_u32_e32 v12, vcc, v11, v7
	v_addc_co_u32_e32 v13, vcc, 0, v8, vcc
	v_mad_u64_u32 v[7:8], s[0:1], v6, v4, 0
	v_mad_u64_u32 v[10:11], s[0:1], v6, v10, 0
	v_add_co_u32_e32 v4, vcc, v12, v7
	v_addc_co_u32_e32 v4, vcc, v13, v8, vcc
	v_addc_co_u32_e32 v7, vcc, 0, v11, vcc
	v_add_co_u32_e32 v4, vcc, v4, v10
	v_addc_co_u32_e32 v10, vcc, 0, v7, vcc
	v_mul_lo_u32 v11, s19, v4
	v_mul_lo_u32 v12, s18, v10
	v_mad_u64_u32 v[7:8], s[0:1], s18, v4, 0
	v_add3_u32 v8, v8, v12, v11
	v_sub_u32_e32 v11, v6, v8
	v_mov_b32_e32 v12, s19
	v_sub_co_u32_e32 v7, vcc, v5, v7
	v_subb_co_u32_e64 v11, s[0:1], v11, v12, vcc
	v_subrev_co_u32_e64 v12, s[0:1], s18, v7
	v_subbrev_co_u32_e64 v11, s[0:1], 0, v11, s[0:1]
	v_cmp_le_u32_e64 s[0:1], s19, v11
	v_cndmask_b32_e64 v13, 0, -1, s[0:1]
	v_cmp_le_u32_e64 s[0:1], s18, v12
	v_cndmask_b32_e64 v12, 0, -1, s[0:1]
	v_cmp_eq_u32_e64 s[0:1], s19, v11
	v_cndmask_b32_e64 v11, v13, v12, s[0:1]
	v_add_co_u32_e64 v12, s[0:1], 2, v4
	v_addc_co_u32_e64 v13, s[0:1], 0, v10, s[0:1]
	v_add_co_u32_e64 v14, s[0:1], 1, v4
	v_addc_co_u32_e64 v15, s[0:1], 0, v10, s[0:1]
	v_subb_co_u32_e32 v8, vcc, v6, v8, vcc
	v_cmp_ne_u32_e64 s[0:1], 0, v11
	v_cmp_le_u32_e32 vcc, s19, v8
	v_cndmask_b32_e64 v11, v15, v13, s[0:1]
	v_cndmask_b32_e64 v13, 0, -1, vcc
	v_cmp_le_u32_e32 vcc, s18, v7
	v_cndmask_b32_e64 v7, 0, -1, vcc
	v_cmp_eq_u32_e32 vcc, s19, v8
	v_cndmask_b32_e32 v7, v13, v7, vcc
	v_cmp_ne_u32_e32 vcc, 0, v7
	v_cndmask_b32_e64 v7, v14, v12, s[0:1]
	v_cndmask_b32_e32 v8, v10, v11, vcc
	v_cndmask_b32_e32 v7, v4, v7, vcc
.LBB0_4:                                ;   in Loop: Header=BB0_2 Depth=1
	s_andn2_saveexec_b64 s[0:1], s[20:21]
	s_cbranch_execz .LBB0_6
; %bb.5:                                ;   in Loop: Header=BB0_2 Depth=1
	v_cvt_f32_u32_e32 v4, s18
	s_sub_i32 s20, 0, s18
	v_rcp_iflag_f32_e32 v4, v4
	v_mul_f32_e32 v4, 0x4f7ffffe, v4
	v_cvt_u32_f32_e32 v4, v4
	v_mul_lo_u32 v7, s20, v4
	v_mul_hi_u32 v7, v4, v7
	v_add_u32_e32 v4, v4, v7
	v_mul_hi_u32 v4, v5, v4
	v_mul_lo_u32 v7, v4, s18
	v_add_u32_e32 v8, 1, v4
	v_sub_u32_e32 v7, v5, v7
	v_subrev_u32_e32 v10, s18, v7
	v_cmp_le_u32_e32 vcc, s18, v7
	v_cndmask_b32_e32 v7, v7, v10, vcc
	v_cndmask_b32_e32 v4, v4, v8, vcc
	v_add_u32_e32 v8, 1, v4
	v_cmp_le_u32_e32 vcc, s18, v7
	v_cndmask_b32_e32 v7, v4, v8, vcc
	v_mov_b32_e32 v8, v3
.LBB0_6:                                ;   in Loop: Header=BB0_2 Depth=1
	s_or_b64 exec, exec, s[0:1]
	v_mul_lo_u32 v4, v8, s18
	v_mul_lo_u32 v12, v7, s19
	v_mad_u64_u32 v[10:11], s[0:1], v7, s18, 0
	s_load_dwordx2 s[0:1], s[6:7], 0x0
	s_add_u32 s16, s16, 1
	v_add3_u32 v4, v11, v12, v4
	v_sub_co_u32_e32 v5, vcc, v5, v10
	v_subb_co_u32_e32 v4, vcc, v6, v4, vcc
	s_waitcnt lgkmcnt(0)
	v_mul_lo_u32 v4, s0, v4
	v_mul_lo_u32 v6, s1, v5
	v_mad_u64_u32 v[1:2], s[0:1], s0, v5, v[1:2]
	s_addc_u32 s17, s17, 0
	s_add_u32 s6, s6, 8
	v_add3_u32 v2, v6, v2, v4
	v_mov_b32_e32 v4, s10
	v_mov_b32_e32 v5, s11
	s_addc_u32 s7, s7, 0
	v_cmp_ge_u64_e32 vcc, s[16:17], v[4:5]
	s_add_u32 s14, s14, 8
	s_addc_u32 s15, s15, 0
	s_cbranch_vccnz .LBB0_9
; %bb.7:                                ;   in Loop: Header=BB0_2 Depth=1
	v_mov_b32_e32 v5, v7
	v_mov_b32_e32 v6, v8
	s_branch .LBB0_2
.LBB0_8:
	v_mov_b32_e32 v8, v6
	v_mov_b32_e32 v7, v5
.LBB0_9:
	s_lshl_b64 s[0:1], s[10:11], 3
	s_add_u32 s0, s2, s0
	s_addc_u32 s1, s3, s1
	s_load_dwordx2 s[2:3], s[0:1], 0x0
	s_load_dwordx2 s[6:7], s[4:5], 0x20
	v_and_b32_e32 v5, 1, v9
	v_cmp_eq_u32_e32 vcc, 1, v5
                                        ; implicit-def: $vgpr13
                                        ; implicit-def: $vgpr12
                                        ; implicit-def: $vgpr10
                                        ; implicit-def: $vgpr6
	s_waitcnt lgkmcnt(0)
	v_mul_lo_u32 v3, s2, v8
	v_mul_lo_u32 v4, s3, v7
	v_mad_u64_u32 v[1:2], s[0:1], s2, v7, v[1:2]
	s_mov_b32 s0, 0x29cbc15
	v_cmp_le_u64_e64 s[2:3], s[6:7], v[7:8]
	v_add3_u32 v2, v4, v2, v3
	v_mul_hi_u32 v4, v0, s0
	v_cmp_gt_u64_e64 s[0:1], s[6:7], v[7:8]
	v_mov_b32_e32 v3, 0x55d
                                        ; implicit-def: $vgpr8
	v_mul_u32_u24_e32 v4, 0x62, v4
	v_sub_u32_e32 v0, v0, v4
                                        ; implicit-def: $vgpr4
	s_and_saveexec_b64 s[4:5], s[2:3]
	s_xor_b64 s[2:3], exec, s[4:5]
; %bb.10:
	v_add_u32_e32 v4, 0x62, v0
	v_add_u32_e32 v13, 0xc4, v0
	v_add_u32_e32 v12, 0x126, v0
	v_add_u32_e32 v10, 0x188, v0
	v_add_u32_e32 v8, 0x1ea, v0
	v_add_u32_e32 v6, 0x24c, v0
; %bb.11:
	s_or_saveexec_b64 s[2:3], s[2:3]
	v_cndmask_b32_e32 v5, 0, v3, vcc
	v_lshlrev_b64 v[2:3], 2, v[1:2]
	v_lshlrev_b32_e32 v14, 2, v5
	v_lshlrev_b32_e32 v5, 2, v0
	s_xor_b64 exec, exec, s[2:3]
	s_cbranch_execz .LBB0_13
; %bb.12:
	v_mov_b32_e32 v1, 0
	v_mov_b32_e32 v4, s13
	v_add_co_u32_e32 v8, vcc, s12, v2
	v_lshlrev_b64 v[6:7], 2, v[0:1]
	v_addc_co_u32_e32 v4, vcc, v4, v3, vcc
	v_add_co_u32_e32 v6, vcc, v8, v6
	v_addc_co_u32_e32 v7, vcc, v4, v7, vcc
	v_add_co_u32_e32 v8, vcc, 0x1000, v6
	global_load_dword v1, v[6:7], off
	global_load_dword v11, v[6:7], off offset:392
	global_load_dword v15, v[6:7], off offset:784
	;; [unrolled: 1-line block ×7, first 2 shown]
	v_addc_co_u32_e32 v9, vcc, 0, v7, vcc
	global_load_dword v21, v[6:7], off offset:3136
	global_load_dword v22, v[6:7], off offset:3528
	;; [unrolled: 1-line block ×6, first 2 shown]
	v_add3_u32 v6, 0, v14, v5
	v_add_u32_e32 v4, 0x62, v0
	v_add_u32_e32 v13, 0xc4, v0
	;; [unrolled: 1-line block ×11, first 2 shown]
	s_waitcnt vmcnt(12)
	ds_write2_b32 v6, v1, v11 offset1:98
	s_waitcnt vmcnt(10)
	ds_write2_b32 v7, v15, v16 offset0:68 offset1:166
	s_waitcnt vmcnt(8)
	ds_write2_b32 v9, v17, v18 offset0:136 offset1:234
	;; [unrolled: 2-line block ×6, first 2 shown]
	v_add_u32_e32 v6, 0x24c, v0
.LBB0_13:
	s_or_b64 exec, exec, s[2:3]
	v_add3_u32 v1, 0, v5, v14
	v_add_u32_e32 v17, 0, v14
	v_add_u32_e32 v19, 0xa00, v1
	s_waitcnt lgkmcnt(0)
	s_barrier
	v_add_u32_e32 v16, v17, v5
	ds_read2_b32 v[20:21], v19 offset0:46 offset1:144
	ds_read_b32 v7, v16
	ds_read_b32 v11, v1 offset:5096
	v_add_u32_e32 v9, 0x600, v1
	v_add_u32_e32 v18, 0x1000, v1
	;; [unrolled: 1-line block ×3, first 2 shown]
	s_waitcnt lgkmcnt(1)
	v_pk_add_f16 v15, v7, v20 neg_lo:[0,1] neg_hi:[0,1]
	v_pk_fma_f16 v20, v7, 2.0, v15 op_sel_hi:[1,0,1] neg_lo:[0,0,1] neg_hi:[0,0,1]
	v_add_u32_e32 v7, 0x400, v1
	ds_read2_b32 v[22:23], v7 offset0:38 offset1:136
	v_add_u32_e32 v7, 0xc00, v1
	ds_read2_b32 v[24:25], v9 offset0:106 offset1:204
	ds_read2_b32 v[26:27], v18 offset0:54 offset1:152
	;; [unrolled: 1-line block ×4, first 2 shown]
	s_waitcnt lgkmcnt(0)
	s_barrier
	ds_write2_b32 v32, v20, v15 offset1:1
	v_pk_add_f16 v15, v30, v21 neg_lo:[0,1] neg_hi:[0,1]
	v_lshl_add_u32 v20, v4, 3, v17
	v_pk_fma_f16 v21, v30, 2.0, v15 op_sel_hi:[1,0,1] neg_lo:[0,0,1] neg_hi:[0,0,1]
	ds_write2_b32 v20, v21, v15 offset1:1
	v_pk_add_f16 v15, v31, v28 neg_lo:[0,1] neg_hi:[0,1]
	v_pk_fma_f16 v21, v31, 2.0, v15 op_sel_hi:[1,0,1] neg_lo:[0,0,1] neg_hi:[0,0,1]
	v_lshl_add_u32 v28, v13, 3, v17
	ds_write2_b32 v28, v21, v15 offset1:1
	v_pk_add_f16 v15, v22, v29 neg_lo:[0,1] neg_hi:[0,1]
	v_lshl_add_u32 v21, v12, 3, v17
	v_pk_fma_f16 v22, v22, 2.0, v15 op_sel_hi:[1,0,1] neg_lo:[0,0,1] neg_hi:[0,0,1]
	ds_write2_b32 v21, v22, v15 offset1:1
	v_pk_add_f16 v15, v23, v26 neg_lo:[0,1] neg_hi:[0,1]
	v_pk_fma_f16 v22, v23, 2.0, v15 op_sel_hi:[1,0,1] neg_lo:[0,0,1] neg_hi:[0,0,1]
	v_lshl_add_u32 v26, v10, 3, v17
	ds_write2_b32 v26, v22, v15 offset1:1
	v_pk_add_f16 v15, v24, v27 neg_lo:[0,1] neg_hi:[0,1]
	v_lshl_add_u32 v22, v8, 3, v17
	v_pk_fma_f16 v23, v24, 2.0, v15 op_sel_hi:[1,0,1] neg_lo:[0,0,1] neg_hi:[0,0,1]
	v_pk_add_f16 v11, v25, v11 neg_lo:[0,1] neg_hi:[0,1]
	ds_write2_b32 v22, v23, v15 offset1:1
	v_pk_fma_f16 v15, v25, 2.0, v11 op_sel_hi:[1,0,1] neg_lo:[0,0,1] neg_hi:[0,0,1]
	v_lshl_add_u32 v25, v6, 3, v17
	ds_write2_b32 v25, v15, v11 offset1:1
	v_and_b32_e32 v15, 1, v0
	v_lshlrev_b32_e32 v11, 2, v15
	s_waitcnt lgkmcnt(0)
	s_barrier
	global_load_dword v31, v11, s[8:9]
	s_movk_i32 s2, 0xfc
	v_lshlrev_b32_e32 v24, 1, v0
	v_lshlrev_b32_e32 v11, 2, v4
	;; [unrolled: 1-line block ×7, first 2 shown]
	v_and_or_b32 v33, v24, s2, v15
	v_sub_u32_e32 v11, v20, v11
	v_sub_u32_e32 v24, v28, v23
	;; [unrolled: 1-line block ×6, first 2 shown]
	v_lshl_add_u32 v32, v33, 2, v17
	ds_read2_b32 v[25:26], v19 offset0:46 offset1:144
	ds_read_b32 v33, v16
	ds_read_b32 v34, v23
	;; [unrolled: 1-line block ×7, first 2 shown]
	ds_read_b32 v40, v1 offset:5096
	ds_read2_b32 v[27:28], v7 offset0:114 offset1:212
	ds_read2_b32 v[29:30], v18 offset0:54 offset1:152
	s_mov_b32 s4, 0xffff
	s_waitcnt vmcnt(0) lgkmcnt(0)
	s_barrier
	s_movk_i32 s2, 0x1fc
	s_mov_b32 s6, 0xbcab
	s_mov_b32 s3, 0xb574
	s_mov_b32 s5, 0xb70e
	s_mov_b32 s7, 0xbb00
	s_movk_i32 s14, 0x3574
	s_movk_i32 s10, 0x39e0
	s_mov_b32 s11, 0xb9e0
	s_movk_i32 s15, 0x310
	v_pk_mul_f16 v41, v31, v25 op_sel:[0,1]
	v_pk_fma_f16 v43, v31, v25, v41 op_sel:[0,0,1] op_sel_hi:[1,1,0]
	v_pk_fma_f16 v25, v31, v25, v41 op_sel:[0,0,1] op_sel_hi:[1,0,0] neg_lo:[1,0,0] neg_hi:[1,0,0]
	v_bfi_b32 v25, s4, v43, v25
	v_pk_add_f16 v25, v33, v25 neg_lo:[0,1] neg_hi:[0,1]
	v_pk_mul_f16 v42, v31, v26 op_sel:[0,1]
	v_pk_fma_f16 v33, v33, 2.0, v25 op_sel_hi:[1,0,1] neg_lo:[0,0,1] neg_hi:[0,0,1]
	ds_write2_b32 v32, v33, v25 offset1:2
	v_pk_fma_f16 v25, v31, v26, v42 op_sel:[0,0,1] op_sel_hi:[1,1,0]
	v_pk_fma_f16 v26, v31, v26, v42 op_sel:[0,0,1] op_sel_hi:[1,0,0] neg_lo:[1,0,0] neg_hi:[1,0,0]
	v_bfi_b32 v25, s4, v25, v26
	v_lshlrev_b32_e32 v26, 1, v4
	v_and_or_b32 v26, v26, s2, v15
	v_pk_add_f16 v25, v39, v25 neg_lo:[0,1] neg_hi:[0,1]
	v_lshl_add_u32 v26, v26, 2, v17
	v_pk_fma_f16 v32, v39, 2.0, v25 op_sel_hi:[1,0,1] neg_lo:[0,0,1] neg_hi:[0,0,1]
	ds_write2_b32 v26, v32, v25 offset1:2
	v_pk_mul_f16 v25, v31, v27 op_sel:[0,1]
	v_pk_fma_f16 v26, v31, v27, v25 op_sel:[0,0,1] op_sel_hi:[1,1,0]
	v_pk_fma_f16 v25, v31, v27, v25 op_sel:[0,0,1] op_sel_hi:[1,0,0] neg_lo:[1,0,0] neg_hi:[1,0,0]
	v_bfi_b32 v25, s4, v26, v25
	s_movk_i32 s2, 0x3fc
	v_lshlrev_b32_e32 v26, 1, v13
	v_and_or_b32 v26, v26, s2, v15
	v_pk_add_f16 v25, v38, v25 neg_lo:[0,1] neg_hi:[0,1]
	v_lshl_add_u32 v26, v26, 2, v17
	v_pk_fma_f16 v27, v38, 2.0, v25 op_sel_hi:[1,0,1] neg_lo:[0,0,1] neg_hi:[0,0,1]
	ds_write2_b32 v26, v27, v25 offset1:2
	v_pk_mul_f16 v25, v31, v28 op_sel:[0,1]
	v_pk_fma_f16 v26, v31, v28, v25 op_sel:[0,0,1] op_sel_hi:[1,1,0]
	v_pk_fma_f16 v25, v31, v28, v25 op_sel:[0,0,1] op_sel_hi:[1,0,0] neg_lo:[1,0,0] neg_hi:[1,0,0]
	v_bfi_b32 v25, s4, v26, v25
	v_lshlrev_b32_e32 v26, 1, v12
	v_and_or_b32 v26, v26, s2, v15
	v_pk_add_f16 v25, v34, v25 neg_lo:[0,1] neg_hi:[0,1]
	v_lshl_add_u32 v26, v26, 2, v17
	v_pk_fma_f16 v27, v34, 2.0, v25 op_sel_hi:[1,0,1] neg_lo:[0,0,1] neg_hi:[0,0,1]
	ds_write2_b32 v26, v27, v25 offset1:2
	v_pk_mul_f16 v25, v31, v29 op_sel:[0,1]
	v_pk_fma_f16 v26, v31, v29, v25 op_sel:[0,0,1] op_sel_hi:[1,1,0]
	v_pk_fma_f16 v25, v31, v29, v25 op_sel:[0,0,1] op_sel_hi:[1,0,0] neg_lo:[1,0,0] neg_hi:[1,0,0]
	v_bfi_b32 v25, s4, v26, v25
	s_movk_i32 s2, 0x7fc
	v_lshlrev_b32_e32 v26, 1, v10
	v_and_or_b32 v26, v26, s2, v15
	v_pk_add_f16 v25, v35, v25 neg_lo:[0,1] neg_hi:[0,1]
	v_lshl_add_u32 v26, v26, 2, v17
	v_pk_fma_f16 v27, v35, 2.0, v25 op_sel_hi:[1,0,1] neg_lo:[0,0,1] neg_hi:[0,0,1]
	ds_write2_b32 v26, v27, v25 offset1:2
	v_pk_mul_f16 v25, v31, v30 op_sel:[0,1]
	v_pk_fma_f16 v26, v31, v30, v25 op_sel:[0,0,1] op_sel_hi:[1,1,0]
	v_pk_fma_f16 v25, v31, v30, v25 op_sel:[0,0,1] op_sel_hi:[1,0,0] neg_lo:[1,0,0] neg_hi:[1,0,0]
	v_bfi_b32 v25, s4, v26, v25
	v_lshlrev_b32_e32 v26, 1, v8
	v_and_or_b32 v26, v26, s2, v15
	v_pk_add_f16 v25, v36, v25 neg_lo:[0,1] neg_hi:[0,1]
	v_lshl_add_u32 v26, v26, 2, v17
	v_pk_fma_f16 v27, v36, 2.0, v25 op_sel_hi:[1,0,1] neg_lo:[0,0,1] neg_hi:[0,0,1]
	ds_write2_b32 v26, v27, v25 offset1:2
	v_pk_mul_f16 v25, v31, v40 op_sel:[0,1]
	v_pk_fma_f16 v26, v31, v40, v25 op_sel:[0,0,1] op_sel_hi:[1,1,0]
	v_pk_fma_f16 v25, v31, v40, v25 op_sel:[0,0,1] op_sel_hi:[1,0,0] neg_lo:[1,0,0] neg_hi:[1,0,0]
	s_movk_i32 s2, 0x5fc
	v_lshlrev_b32_e32 v27, 1, v6
	v_bfi_b32 v25, s4, v26, v25
	v_and_or_b32 v15, v27, s2, v15
	v_pk_add_f16 v25, v37, v25 neg_lo:[0,1] neg_hi:[0,1]
	v_lshl_add_u32 v15, v15, 2, v17
	v_pk_fma_f16 v26, v37, 2.0, v25 op_sel_hi:[1,0,1] neg_lo:[0,0,1] neg_hi:[0,0,1]
	ds_write2_b32 v15, v26, v25 offset1:2
	v_and_b32_e32 v15, 3, v0
	v_mul_u32_u24_e32 v25, 6, v15
	v_lshlrev_b32_e32 v37, 2, v25
	s_waitcnt lgkmcnt(0)
	s_barrier
	global_load_dwordx4 v[25:28], v37, s[8:9] offset:8
	v_and_b32_e32 v38, 3, v4
	v_mul_u32_u24_e32 v29, 6, v38
	v_lshlrev_b32_e32 v39, 2, v29
	global_load_dwordx4 v[29:32], v39, s[8:9] offset:8
	global_load_dwordx2 v[33:34], v37, s[8:9] offset:24
	global_load_dwordx2 v[35:36], v39, s[8:9] offset:24
	ds_read_b32 v37, v24
	ds_read_b32 v39, v23
	;; [unrolled: 1-line block ×6, first 2 shown]
	s_waitcnt lgkmcnt(5)
	v_lshrrev_b32_e32 v44, 16, v37
	s_waitcnt lgkmcnt(3)
	v_lshrrev_b32_e32 v46, 16, v40
	ds_read_b32 v52, v1 offset:5096
	s_movk_i32 s2, 0x2b26
	s_waitcnt vmcnt(3)
	v_mul_f16_sdwa v45, v25, v44 dst_sel:DWORD dst_unused:UNUSED_PAD src0_sel:WORD_1 src1_sel:DWORD
	v_fma_f16 v45, v25, v37, v45
	v_mul_f16_sdwa v37, v25, v37 dst_sel:DWORD dst_unused:UNUSED_PAD src0_sel:WORD_1 src1_sel:DWORD
	v_fma_f16 v37, v25, v44, -v37
	s_waitcnt lgkmcnt(2)
	v_lshrrev_b32_e32 v25, 16, v42
	v_mul_f16_sdwa v44, v26, v25 dst_sel:DWORD dst_unused:UNUSED_PAD src0_sel:WORD_1 src1_sel:DWORD
	v_fma_f16 v44, v26, v42, v44
	v_mul_f16_sdwa v42, v26, v42 dst_sel:DWORD dst_unused:UNUSED_PAD src0_sel:WORD_1 src1_sel:DWORD
	v_fma_f16 v42, v26, v25, -v42
	ds_read2_b32 v[25:26], v19 offset0:46 offset1:144
	v_mul_f16_sdwa v47, v27, v46 dst_sel:DWORD dst_unused:UNUSED_PAD src0_sel:WORD_1 src1_sel:DWORD
	v_fma_f16 v47, v27, v40, v47
	v_mul_f16_sdwa v40, v27, v40 dst_sel:DWORD dst_unused:UNUSED_PAD src0_sel:WORD_1 src1_sel:DWORD
	v_fma_f16 v40, v27, v46, -v40
	s_waitcnt lgkmcnt(0)
	v_lshrrev_b32_e32 v27, 16, v26
	v_mul_f16_sdwa v46, v28, v26 dst_sel:DWORD dst_unused:UNUSED_PAD src0_sel:WORD_1 src1_sel:DWORD
	v_fma_f16 v46, v28, v27, -v46
	v_mul_f16_sdwa v27, v28, v27 dst_sel:DWORD dst_unused:UNUSED_PAD src0_sel:WORD_1 src1_sel:DWORD
	v_fma_f16 v28, v28, v26, v27
	v_lshrrev_b32_e32 v26, 16, v39
	s_waitcnt vmcnt(2)
	v_mul_f16_sdwa v27, v26, v29 dst_sel:DWORD dst_unused:UNUSED_PAD src0_sel:DWORD src1_sel:WORD_1
	v_fma_f16 v48, v39, v29, v27
	v_mul_f16_sdwa v27, v39, v29 dst_sel:DWORD dst_unused:UNUSED_PAD src0_sel:DWORD src1_sel:WORD_1
	v_fma_f16 v29, v26, v29, -v27
	v_lshrrev_b32_e32 v26, 16, v41
	v_mul_f16_sdwa v27, v26, v30 dst_sel:DWORD dst_unused:UNUSED_PAD src0_sel:DWORD src1_sel:WORD_1
	v_fma_f16 v39, v41, v30, v27
	v_mul_f16_sdwa v27, v41, v30 dst_sel:DWORD dst_unused:UNUSED_PAD src0_sel:DWORD src1_sel:WORD_1
	v_fma_f16 v30, v26, v30, -v27
	ds_read2_b32 v[26:27], v7 offset0:114 offset1:212
	v_lshrrev_b32_e32 v41, 16, v25
	v_mul_f16_sdwa v49, v41, v31 dst_sel:DWORD dst_unused:UNUSED_PAD src0_sel:DWORD src1_sel:WORD_1
	v_fma_f16 v49, v25, v31, v49
	v_mul_f16_sdwa v25, v25, v31 dst_sel:DWORD dst_unused:UNUSED_PAD src0_sel:DWORD src1_sel:WORD_1
	v_fma_f16 v31, v41, v31, -v25
	s_waitcnt lgkmcnt(0)
	v_lshrrev_b32_e32 v25, 16, v26
	v_mul_f16_sdwa v41, v26, v32 dst_sel:DWORD dst_unused:UNUSED_PAD src0_sel:DWORD src1_sel:WORD_1
	v_fma_f16 v41, v25, v32, -v41
	v_mul_f16_sdwa v25, v25, v32 dst_sel:DWORD dst_unused:UNUSED_PAD src0_sel:DWORD src1_sel:WORD_1
	v_fma_f16 v32, v26, v32, v25
	ds_read2_b32 v[25:26], v18 offset0:54 offset1:152
	v_lshrrev_b32_e32 v50, 16, v27
	s_waitcnt vmcnt(1)
	v_mul_f16_sdwa v51, v33, v50 dst_sel:DWORD dst_unused:UNUSED_PAD src0_sel:WORD_1 src1_sel:DWORD
	v_fma_f16 v51, v33, v27, v51
	v_mul_f16_sdwa v27, v33, v27 dst_sel:DWORD dst_unused:UNUSED_PAD src0_sel:WORD_1 src1_sel:DWORD
	v_fma_f16 v27, v33, v50, -v27
	s_waitcnt lgkmcnt(0)
	v_lshrrev_b32_e32 v33, 16, v26
	v_mul_f16_sdwa v50, v26, v34 dst_sel:DWORD dst_unused:UNUSED_PAD src0_sel:DWORD src1_sel:WORD_1
	v_fma_f16 v50, v33, v34, -v50
	v_mul_f16_sdwa v33, v33, v34 dst_sel:DWORD dst_unused:UNUSED_PAD src0_sel:DWORD src1_sel:WORD_1
	v_fma_f16 v26, v26, v34, v33
	v_lshrrev_b32_e32 v33, 16, v25
	s_waitcnt vmcnt(0)
	v_mul_f16_sdwa v34, v33, v35 dst_sel:DWORD dst_unused:UNUSED_PAD src0_sel:DWORD src1_sel:WORD_1
	v_fma_f16 v34, v25, v35, v34
	v_mul_f16_sdwa v25, v25, v35 dst_sel:DWORD dst_unused:UNUSED_PAD src0_sel:DWORD src1_sel:WORD_1
	v_fma_f16 v25, v33, v35, -v25
	ds_read_b32 v33, v16
	v_lshrrev_b32_e32 v35, 16, v52
	v_mul_f16_sdwa v53, v35, v36 dst_sel:DWORD dst_unused:UNUSED_PAD src0_sel:DWORD src1_sel:WORD_1
	v_fma_f16 v53, v52, v36, v53
	v_mul_f16_sdwa v52, v52, v36 dst_sel:DWORD dst_unused:UNUSED_PAD src0_sel:DWORD src1_sel:WORD_1
	v_fma_f16 v35, v35, v36, -v52
	v_add_f16_e32 v36, v45, v26
	v_sub_f16_e32 v26, v45, v26
	v_add_f16_e32 v45, v37, v50
	v_sub_f16_e32 v37, v37, v50
	;; [unrolled: 2-line block ×6, first 2 shown]
	v_lshrrev_b32_e32 v46, 2, v0
	v_mul_u32_u24_e32 v46, 28, v46
	v_or_b32_e32 v15, v46, v15
	v_add_f16_e32 v46, v50, v36
	v_add_f16_e32 v52, v51, v45
	;; [unrolled: 1-line block ×4, first 2 shown]
	s_waitcnt lgkmcnt(0)
	v_add_f16_e32 v54, v46, v33
	v_add_f16_sdwa v33, v52, v33 dst_sel:DWORD dst_unused:UNUSED_PAD src0_sel:DWORD src1_sel:WORD_1
	v_fma_f16 v46, v46, s6, v54
	v_fma_f16 v52, v52, s6, v33
	v_pack_b32_f16 v33, v54, v33
	v_sub_f16_e32 v54, v36, v42
	v_sub_f16_e32 v55, v45, v47
	;; [unrolled: 1-line block ×6, first 2 shown]
	v_add_f16_e32 v56, v28, v44
	v_sub_f16_e32 v28, v26, v28
	v_add_f16_e32 v58, v40, v27
	v_sub_f16_e32 v40, v37, v40
	v_mul_f16_e32 v54, 0x3a52, v54
	v_mul_f16_e32 v55, 0x3a52, v55
	;; [unrolled: 1-line block ×4, first 2 shown]
	v_add_f16_e32 v56, v56, v26
	v_add_f16_e32 v58, v58, v37
	v_fma_f16 v60, v42, s2, v54
	v_fma_f16 v61, v47, s2, v55
	;; [unrolled: 1-line block ×4, first 2 shown]
	v_add_f16_e32 v60, v60, v46
	v_add_f16_e32 v61, v61, v52
	v_fma_f16 v62, v56, s5, v62
	v_fma_f16 v63, v58, s5, v63
	v_add_f16_e32 v64, v63, v60
	v_sub_f16_e32 v65, v61, v62
	v_sub_f16_e32 v26, v44, v26
	v_pack_b32_f16 v64, v64, v65
	v_lshl_add_u32 v15, v15, 2, v17
	v_sub_f16_e32 v27, v27, v37
	v_fma_f16 v44, v26, s7, -v57
	v_mul_f16_e32 v26, 0xbb00, v26
	s_barrier
	ds_write2_b32 v15, v33, v64 offset1:4
	v_sub_f16_e32 v33, v50, v36
	v_sub_f16_e32 v36, v51, v45
	v_mul_f16_e32 v37, 0x2b26, v42
	v_mul_f16_e32 v42, 0x2b26, v47
	v_fma_f16 v26, v28, s14, -v26
	v_fma_f16 v28, v27, s7, -v59
	v_mul_f16_e32 v27, 0xbb00, v27
	v_fma_f16 v37, v33, s10, -v37
	v_fma_f16 v33, v33, s11, -v54
	v_fma_f16 v42, v36, s10, -v42
	v_fma_f16 v36, v36, s11, -v55
	v_fma_f16 v27, v40, s14, -v27
	v_add_f16_e32 v33, v33, v46
	v_add_f16_e32 v36, v36, v52
	v_fma_f16 v26, v56, s5, v26
	v_fma_f16 v27, v58, s5, v27
	v_add_f16_e32 v37, v37, v46
	v_add_f16_e32 v40, v42, v52
	v_fma_f16 v42, v56, s5, v44
	v_fma_f16 v28, v58, s5, v28
	v_add_f16_e32 v44, v27, v33
	v_sub_f16_e32 v45, v36, v26
	v_pack_b32_f16 v44, v44, v45
	v_sub_f16_e32 v45, v37, v28
	v_add_f16_e32 v28, v28, v37
	v_sub_f16_e32 v37, v40, v42
	v_sub_f16_e32 v27, v33, v27
	v_add_f16_e32 v26, v26, v36
	v_pack_b32_f16 v28, v28, v37
	v_pack_b32_f16 v26, v27, v26
	ds_write2_b32 v15, v28, v26 offset0:16 offset1:20
	v_sub_f16_e32 v26, v60, v63
	v_add_f16_e32 v27, v62, v61
	v_pack_b32_f16 v26, v26, v27
	v_add_f16_e32 v27, v29, v35
	v_sub_f16_e32 v28, v29, v35
	v_lshrrev_b32_e32 v35, 2, v4
	v_mul_lo_u32 v35, v35, 28
	v_add_f16_e32 v46, v42, v40
	v_pack_b32_f16 v45, v45, v46
	ds_write2_b32 v15, v44, v45 offset0:8 offset1:12
	ds_write_b32 v15, v26 offset:96
	v_add_f16_e32 v15, v48, v53
	v_add_f16_e32 v29, v39, v34
	v_sub_f16_e32 v33, v39, v34
	v_add_f16_e32 v34, v30, v25
	v_sub_f16_e32 v25, v30, v25
	v_add_f16_e32 v30, v49, v32
	v_add_f16_e32 v36, v31, v41
	v_or_b32_e32 v35, v35, v38
	v_add_f16_e32 v37, v29, v15
	v_add_f16_e32 v38, v34, v27
	;; [unrolled: 1-line block ×4, first 2 shown]
	v_sub_f16_e32 v32, v32, v49
	v_add_f16_e32 v39, v37, v43
	v_add_f16_sdwa v40, v38, v43 dst_sel:DWORD dst_unused:UNUSED_PAD src0_sel:DWORD src1_sel:WORD_1
	v_sub_f16_e32 v26, v48, v53
	v_sub_f16_e32 v31, v41, v31
	v_fma_f16 v37, v37, s6, v39
	v_fma_f16 v38, v38, s6, v40
	v_pack_b32_f16 v39, v39, v40
	v_sub_f16_e32 v40, v15, v30
	v_add_f16_e32 v42, v32, v33
	v_sub_f16_e32 v43, v32, v33
	v_sub_f16_e32 v30, v30, v29
	v_sub_f16_e32 v32, v26, v32
	v_add_f16_e32 v44, v31, v25
	v_sub_f16_e32 v45, v31, v25
	v_add_f16_e32 v42, v42, v26
	v_mul_f16_e32 v40, 0x3a52, v40
	v_mul_f16_e32 v43, 0x3846, v43
	v_sub_f16_e32 v26, v33, v26
	v_sub_f16_e32 v41, v27, v36
	;; [unrolled: 1-line block ×4, first 2 shown]
	v_add_f16_e32 v44, v44, v28
	v_mul_f16_e32 v45, 0x3846, v45
	v_fma_f16 v46, v30, s2, v40
	v_sub_f16_e32 v25, v25, v28
	v_mul_f16_e32 v28, 0x2b26, v30
	v_fma_f16 v30, v26, s7, -v43
	v_mul_f16_e32 v26, 0xbb00, v26
	v_mul_f16_e32 v41, 0x3a52, v41
	v_fma_f16 v48, v32, s3, v43
	v_sub_f16_e32 v15, v29, v15
	v_sub_f16_e32 v27, v34, v27
	v_mul_f16_e32 v29, 0x2b26, v36
	v_fma_f16 v26, v32, s14, -v26
	v_fma_f16 v32, v25, s7, -v45
	v_mul_f16_e32 v25, 0xbb00, v25
	v_fma_f16 v28, v15, s10, -v28
	v_fma_f16 v15, v15, s11, -v40
	;; [unrolled: 1-line block ×5, first 2 shown]
	v_add_f16_e32 v15, v15, v37
	v_add_f16_e32 v27, v27, v38
	v_fma_f16 v26, v42, s5, v26
	v_fma_f16 v25, v44, s5, v25
	;; [unrolled: 1-line block ×3, first 2 shown]
	v_add_f16_e32 v28, v28, v37
	v_add_f16_e32 v29, v29, v38
	v_fma_f16 v30, v42, s5, v30
	v_fma_f16 v31, v44, s5, v32
	v_add_f16_e32 v32, v25, v15
	v_sub_f16_e32 v33, v27, v26
	v_fma_f16 v47, v36, s2, v41
	v_pack_b32_f16 v32, v32, v33
	v_sub_f16_e32 v33, v28, v31
	v_add_f16_e32 v34, v30, v29
	v_add_f16_e32 v28, v31, v28
	v_sub_f16_e32 v29, v29, v30
	v_sub_f16_e32 v15, v15, v25
	v_add_f16_e32 v25, v26, v27
	v_add_f16_e32 v46, v46, v37
	;; [unrolled: 1-line block ×3, first 2 shown]
	v_fma_f16 v48, v42, s5, v48
	v_fma_f16 v49, v44, s5, v49
	v_lshl_add_u32 v35, v35, 2, v17
	v_pack_b32_f16 v26, v28, v29
	v_pack_b32_f16 v15, v15, v25
	ds_write2_b32 v35, v26, v15 offset0:16 offset1:20
	v_sub_f16_e32 v15, v46, v49
	v_add_f16_e32 v25, v48, v47
	v_pack_b32_f16 v15, v15, v25
	ds_write_b32 v35, v15 offset:96
	v_lshrrev_b16_e32 v15, 2, v0
	v_and_b32_e32 v15, 63, v15
	v_mul_lo_u16_e32 v15, 37, v15
	v_lshrrev_b16_e32 v15, 8, v15
	v_mul_lo_u16_e32 v25, 28, v15
	v_sub_u16_e32 v37, v0, v25
	v_mov_b32_e32 v29, 6
	v_add_f16_e32 v50, v49, v46
	v_sub_f16_e32 v51, v47, v48
	v_mul_u32_u24_sdwa v25, v37, v29 dst_sel:DWORD dst_unused:UNUSED_PAD src0_sel:BYTE_0 src1_sel:DWORD
	v_pack_b32_f16 v50, v50, v51
	v_pack_b32_f16 v33, v33, v34
	v_lshlrev_b32_e32 v38, 2, v25
	ds_write2_b32 v35, v39, v50 offset1:4
	ds_write2_b32 v35, v32, v33 offset0:8 offset1:12
	s_waitcnt lgkmcnt(0)
	s_barrier
	global_load_dwordx4 v[25:28], v38, s[8:9] offset:104
	v_lshrrev_b16_e32 v30, 2, v4
	v_and_b32_e32 v30, 63, v30
	v_mul_lo_u16_e32 v30, 37, v30
	v_lshrrev_b16_e32 v39, 8, v30
	v_mul_lo_u16_e32 v30, 28, v39
	v_sub_u16_e32 v40, v4, v30
	v_mul_u32_u24_sdwa v29, v40, v29 dst_sel:DWORD dst_unused:UNUSED_PAD src0_sel:BYTE_0 src1_sel:DWORD
	v_lshlrev_b32_e32 v41, 2, v29
	global_load_dwordx4 v[29:32], v41, s[8:9] offset:104
	global_load_dwordx2 v[33:34], v38, s[8:9] offset:120
	global_load_dwordx2 v[35:36], v41, s[8:9] offset:120
	ds_read_b32 v38, v24
	ds_read_b32 v41, v22
	ds_read_b32 v42, v21
	ds_read_b32 v43, v20
	ds_read_b32 v44, v23
	ds_read_b32 v45, v11
	s_waitcnt lgkmcnt(5)
	v_lshrrev_b32_e32 v46, 16, v38
	s_waitcnt lgkmcnt(4)
	v_lshrrev_b32_e32 v48, 16, v41
	ds_read_b32 v54, v1 offset:5096
	v_mad_u32_u24 v15, v15, s15, 0
	s_waitcnt vmcnt(3)
	v_mul_f16_sdwa v47, v25, v46 dst_sel:DWORD dst_unused:UNUSED_PAD src0_sel:WORD_1 src1_sel:DWORD
	v_fma_f16 v47, v25, v38, v47
	v_mul_f16_sdwa v38, v25, v38 dst_sel:DWORD dst_unused:UNUSED_PAD src0_sel:WORD_1 src1_sel:DWORD
	v_fma_f16 v38, v25, v46, -v38
	s_waitcnt lgkmcnt(3)
	v_lshrrev_b32_e32 v25, 16, v43
	v_mul_f16_sdwa v46, v26, v25 dst_sel:DWORD dst_unused:UNUSED_PAD src0_sel:WORD_1 src1_sel:DWORD
	v_fma_f16 v46, v26, v43, v46
	v_mul_f16_sdwa v43, v26, v43 dst_sel:DWORD dst_unused:UNUSED_PAD src0_sel:WORD_1 src1_sel:DWORD
	v_fma_f16 v43, v26, v25, -v43
	ds_read2_b32 v[25:26], v19 offset0:46 offset1:144
	v_mul_f16_sdwa v49, v27, v48 dst_sel:DWORD dst_unused:UNUSED_PAD src0_sel:WORD_1 src1_sel:DWORD
	v_fma_f16 v49, v27, v41, v49
	v_mul_f16_sdwa v41, v27, v41 dst_sel:DWORD dst_unused:UNUSED_PAD src0_sel:WORD_1 src1_sel:DWORD
	v_fma_f16 v41, v27, v48, -v41
	s_waitcnt lgkmcnt(0)
	v_lshrrev_b32_e32 v27, 16, v26
	v_mul_f16_sdwa v48, v28, v26 dst_sel:DWORD dst_unused:UNUSED_PAD src0_sel:WORD_1 src1_sel:DWORD
	v_fma_f16 v48, v28, v27, -v48
	v_mul_f16_sdwa v27, v28, v27 dst_sel:DWORD dst_unused:UNUSED_PAD src0_sel:WORD_1 src1_sel:DWORD
	v_fma_f16 v28, v28, v26, v27
	v_lshrrev_b32_e32 v26, 16, v44
	s_waitcnt vmcnt(2)
	v_mul_f16_sdwa v27, v26, v29 dst_sel:DWORD dst_unused:UNUSED_PAD src0_sel:DWORD src1_sel:WORD_1
	v_fma_f16 v50, v44, v29, v27
	v_mul_f16_sdwa v27, v44, v29 dst_sel:DWORD dst_unused:UNUSED_PAD src0_sel:DWORD src1_sel:WORD_1
	v_fma_f16 v29, v26, v29, -v27
	v_lshrrev_b32_e32 v26, 16, v42
	v_mul_f16_sdwa v27, v26, v30 dst_sel:DWORD dst_unused:UNUSED_PAD src0_sel:DWORD src1_sel:WORD_1
	v_fma_f16 v44, v42, v30, v27
	v_mul_f16_sdwa v27, v42, v30 dst_sel:DWORD dst_unused:UNUSED_PAD src0_sel:DWORD src1_sel:WORD_1
	v_fma_f16 v30, v26, v30, -v27
	ds_read2_b32 v[26:27], v7 offset0:114 offset1:212
	v_lshrrev_b32_e32 v42, 16, v25
	v_mul_f16_sdwa v51, v42, v31 dst_sel:DWORD dst_unused:UNUSED_PAD src0_sel:DWORD src1_sel:WORD_1
	v_fma_f16 v51, v25, v31, v51
	v_mul_f16_sdwa v25, v25, v31 dst_sel:DWORD dst_unused:UNUSED_PAD src0_sel:DWORD src1_sel:WORD_1
	v_fma_f16 v31, v42, v31, -v25
	s_waitcnt lgkmcnt(0)
	v_lshrrev_b32_e32 v25, 16, v26
	v_mul_f16_sdwa v42, v26, v32 dst_sel:DWORD dst_unused:UNUSED_PAD src0_sel:DWORD src1_sel:WORD_1
	v_fma_f16 v42, v25, v32, -v42
	v_mul_f16_sdwa v25, v25, v32 dst_sel:DWORD dst_unused:UNUSED_PAD src0_sel:DWORD src1_sel:WORD_1
	v_fma_f16 v32, v26, v32, v25
	ds_read2_b32 v[25:26], v18 offset0:54 offset1:152
	v_lshrrev_b32_e32 v52, 16, v27
	s_waitcnt vmcnt(1)
	v_mul_f16_sdwa v53, v33, v52 dst_sel:DWORD dst_unused:UNUSED_PAD src0_sel:WORD_1 src1_sel:DWORD
	v_fma_f16 v53, v33, v27, v53
	v_mul_f16_sdwa v27, v33, v27 dst_sel:DWORD dst_unused:UNUSED_PAD src0_sel:WORD_1 src1_sel:DWORD
	v_fma_f16 v27, v33, v52, -v27
	s_waitcnt lgkmcnt(0)
	v_lshrrev_b32_e32 v33, 16, v26
	v_mul_f16_sdwa v52, v26, v34 dst_sel:DWORD dst_unused:UNUSED_PAD src0_sel:DWORD src1_sel:WORD_1
	v_fma_f16 v52, v33, v34, -v52
	v_mul_f16_sdwa v33, v33, v34 dst_sel:DWORD dst_unused:UNUSED_PAD src0_sel:DWORD src1_sel:WORD_1
	v_fma_f16 v26, v26, v34, v33
	v_lshrrev_b32_e32 v33, 16, v25
	s_waitcnt vmcnt(0)
	v_mul_f16_sdwa v34, v33, v35 dst_sel:DWORD dst_unused:UNUSED_PAD src0_sel:DWORD src1_sel:WORD_1
	v_fma_f16 v34, v25, v35, v34
	v_mul_f16_sdwa v25, v25, v35 dst_sel:DWORD dst_unused:UNUSED_PAD src0_sel:DWORD src1_sel:WORD_1
	v_fma_f16 v25, v33, v35, -v25
	ds_read_b32 v33, v16
	v_lshrrev_b32_e32 v35, 16, v54
	v_mul_f16_sdwa v55, v35, v36 dst_sel:DWORD dst_unused:UNUSED_PAD src0_sel:DWORD src1_sel:WORD_1
	v_fma_f16 v55, v54, v36, v55
	v_mul_f16_sdwa v54, v54, v36 dst_sel:DWORD dst_unused:UNUSED_PAD src0_sel:DWORD src1_sel:WORD_1
	v_fma_f16 v35, v35, v36, -v54
	v_add_f16_e32 v36, v47, v26
	v_sub_f16_e32 v26, v47, v26
	v_add_f16_e32 v47, v38, v52
	v_sub_f16_e32 v38, v38, v52
	;; [unrolled: 2-line block ×6, first 2 shown]
	v_mov_b32_e32 v48, 2
	v_lshlrev_b32_sdwa v37, v48, v37 dst_sel:DWORD dst_unused:UNUSED_PAD src0_sel:DWORD src1_sel:BYTE_0
	v_add3_u32 v15, v15, v37, v14
	v_add_f16_e32 v37, v52, v36
	v_add_f16_e32 v54, v53, v47
	;; [unrolled: 1-line block ×4, first 2 shown]
	s_waitcnt lgkmcnt(0)
	v_add_f16_e32 v56, v37, v33
	v_add_f16_sdwa v33, v54, v33 dst_sel:DWORD dst_unused:UNUSED_PAD src0_sel:DWORD src1_sel:WORD_1
	v_fma_f16 v37, v37, s6, v56
	v_fma_f16 v54, v54, s6, v33
	v_pack_b32_f16 v33, v56, v33
	v_sub_f16_e32 v56, v36, v43
	v_sub_f16_e32 v57, v47, v49
	;; [unrolled: 1-line block ×6, first 2 shown]
	v_add_f16_e32 v58, v28, v46
	v_sub_f16_e32 v28, v26, v28
	v_add_f16_e32 v60, v41, v27
	v_sub_f16_e32 v41, v38, v41
	v_mul_f16_e32 v56, 0x3a52, v56
	v_mul_f16_e32 v57, 0x3a52, v57
	;; [unrolled: 1-line block ×4, first 2 shown]
	v_add_f16_e32 v58, v58, v26
	v_add_f16_e32 v60, v60, v38
	v_fma_f16 v62, v43, s2, v56
	v_fma_f16 v63, v49, s2, v57
	;; [unrolled: 1-line block ×4, first 2 shown]
	v_add_f16_e32 v62, v62, v37
	v_add_f16_e32 v63, v63, v54
	v_fma_f16 v64, v58, s5, v64
	v_fma_f16 v65, v60, s5, v65
	v_add_f16_e32 v66, v65, v62
	v_sub_f16_e32 v67, v63, v64
	v_sub_f16_e32 v26, v46, v26
	v_pack_b32_f16 v66, v66, v67
	v_sub_f16_e32 v27, v27, v38
	v_fma_f16 v46, v26, s7, -v59
	v_mul_f16_e32 v26, 0xbb00, v26
	s_barrier
	ds_write2_b32 v15, v33, v66 offset1:28
	v_sub_f16_e32 v33, v52, v36
	v_sub_f16_e32 v36, v53, v47
	v_mul_f16_e32 v38, 0x2b26, v43
	v_mul_f16_e32 v43, 0x2b26, v49
	v_fma_f16 v26, v28, s14, -v26
	v_fma_f16 v28, v27, s7, -v61
	v_mul_f16_e32 v27, 0xbb00, v27
	v_fma_f16 v38, v33, s10, -v38
	v_fma_f16 v33, v33, s11, -v56
	;; [unrolled: 1-line block ×5, first 2 shown]
	v_add_f16_e32 v33, v33, v37
	v_add_f16_e32 v36, v36, v54
	v_fma_f16 v26, v58, s5, v26
	v_fma_f16 v27, v60, s5, v27
	v_add_f16_e32 v38, v38, v37
	v_add_f16_e32 v37, v43, v54
	v_fma_f16 v41, v58, s5, v46
	v_fma_f16 v28, v60, s5, v28
	v_add_f16_e32 v43, v27, v33
	v_sub_f16_e32 v46, v36, v26
	v_pack_b32_f16 v43, v43, v46
	v_sub_f16_e32 v46, v38, v28
	v_add_f16_e32 v47, v41, v37
	v_add_f16_e32 v28, v28, v38
	v_sub_f16_e32 v37, v37, v41
	v_sub_f16_e32 v27, v33, v27
	v_add_f16_e32 v26, v26, v36
	v_pack_b32_f16 v28, v28, v37
	v_pack_b32_f16 v26, v27, v26
	ds_write2_b32 v15, v28, v26 offset0:112 offset1:140
	v_sub_f16_e32 v26, v62, v65
	v_add_f16_e32 v27, v64, v63
	v_pack_b32_f16 v46, v46, v47
	v_pack_b32_f16 v26, v26, v27
	ds_write2_b32 v15, v43, v46 offset0:56 offset1:84
	ds_write_b32 v15, v26 offset:672
	v_lshlrev_b32_sdwa v15, v48, v40 dst_sel:DWORD dst_unused:UNUSED_PAD src0_sel:DWORD src1_sel:BYTE_0
	v_mad_u32_u24 v26, v39, s15, 0
	v_add3_u32 v14, v26, v15, v14
	v_add_f16_e32 v15, v50, v55
	v_add_f16_e32 v27, v29, v35
	v_sub_f16_e32 v28, v29, v35
	v_add_f16_e32 v29, v44, v34
	v_sub_f16_e32 v33, v44, v34
	;; [unrolled: 2-line block ×3, first 2 shown]
	v_add_f16_e32 v30, v51, v32
	v_add_f16_e32 v35, v31, v42
	;; [unrolled: 1-line block ×6, first 2 shown]
	v_sub_f16_e32 v32, v32, v51
	v_add_f16_e32 v38, v36, v45
	v_add_f16_sdwa v39, v37, v45 dst_sel:DWORD dst_unused:UNUSED_PAD src0_sel:DWORD src1_sel:WORD_1
	v_sub_f16_e32 v26, v50, v55
	v_sub_f16_e32 v31, v42, v31
	v_fma_f16 v36, v36, s6, v38
	v_fma_f16 v37, v37, s6, v39
	v_pack_b32_f16 v38, v38, v39
	v_sub_f16_e32 v39, v15, v30
	v_add_f16_e32 v41, v32, v33
	v_sub_f16_e32 v42, v32, v33
	v_sub_f16_e32 v30, v30, v29
	;; [unrolled: 1-line block ×3, first 2 shown]
	v_add_f16_e32 v43, v31, v25
	v_sub_f16_e32 v44, v31, v25
	v_add_f16_e32 v41, v41, v26
	v_mul_f16_e32 v39, 0x3a52, v39
	v_mul_f16_e32 v42, 0x3846, v42
	v_sub_f16_e32 v26, v33, v26
	v_sub_f16_e32 v40, v27, v35
	;; [unrolled: 1-line block ×4, first 2 shown]
	v_add_f16_e32 v43, v43, v28
	v_mul_f16_e32 v44, 0x3846, v44
	v_fma_f16 v45, v30, s2, v39
	v_sub_f16_e32 v25, v25, v28
	v_mul_f16_e32 v28, 0x2b26, v30
	v_fma_f16 v30, v26, s7, -v42
	v_mul_f16_e32 v26, 0xbb00, v26
	v_mul_f16_e32 v40, 0x3a52, v40
	v_fma_f16 v47, v32, s3, v42
	v_sub_f16_e32 v15, v29, v15
	v_sub_f16_e32 v27, v34, v27
	v_mul_f16_e32 v29, 0x2b26, v35
	v_fma_f16 v26, v32, s14, -v26
	v_fma_f16 v32, v25, s7, -v44
	v_mul_f16_e32 v25, 0xbb00, v25
	v_fma_f16 v28, v15, s10, -v28
	v_fma_f16 v15, v15, s11, -v39
	;; [unrolled: 1-line block ×5, first 2 shown]
	v_add_f16_e32 v15, v15, v36
	v_add_f16_e32 v27, v27, v37
	v_fma_f16 v26, v41, s5, v26
	v_fma_f16 v25, v43, s5, v25
	;; [unrolled: 1-line block ×3, first 2 shown]
	v_add_f16_e32 v28, v28, v36
	v_add_f16_e32 v29, v29, v37
	v_fma_f16 v30, v41, s5, v30
	v_fma_f16 v31, v43, s5, v32
	v_add_f16_e32 v32, v25, v15
	v_sub_f16_e32 v33, v27, v26
	v_fma_f16 v46, v35, s2, v40
	v_pack_b32_f16 v32, v32, v33
	v_sub_f16_e32 v33, v28, v31
	v_add_f16_e32 v34, v30, v29
	v_add_f16_e32 v28, v31, v28
	v_sub_f16_e32 v29, v29, v30
	v_sub_f16_e32 v15, v15, v25
	v_add_f16_e32 v25, v26, v27
	v_add_f16_e32 v45, v45, v36
	;; [unrolled: 1-line block ×3, first 2 shown]
	v_fma_f16 v47, v41, s5, v47
	v_fma_f16 v48, v43, s5, v48
	v_pack_b32_f16 v26, v28, v29
	v_pack_b32_f16 v15, v15, v25
	v_add_f16_e32 v49, v48, v45
	v_sub_f16_e32 v50, v46, v47
	ds_write2_b32 v14, v26, v15 offset0:112 offset1:140
	v_sub_f16_e32 v15, v45, v48
	v_add_f16_e32 v25, v47, v46
	v_pack_b32_f16 v49, v49, v50
	v_pack_b32_f16 v33, v33, v34
	;; [unrolled: 1-line block ×3, first 2 shown]
	ds_write2_b32 v14, v38, v49 offset1:28
	ds_write2_b32 v14, v32, v33 offset0:56 offset1:84
	ds_write_b32 v14, v15 offset:672
	v_mul_u32_u24_e32 v14, 6, v0
	v_lshlrev_b32_e32 v39, 2, v14
	s_waitcnt lgkmcnt(0)
	s_barrier
	global_load_dwordx4 v[25:28], v39, s[8:9] offset:776
	v_mul_i32_i24_e32 v14, 6, v4
	v_mov_b32_e32 v15, 0
	v_lshlrev_b64 v[29:30], 2, v[14:15]
	v_mov_b32_e32 v31, s9
	v_add_co_u32_e32 v33, vcc, s8, v29
	v_addc_co_u32_e32 v34, vcc, v31, v30, vcc
	global_load_dwordx4 v[29:32], v[33:34], off offset:776
	global_load_dwordx2 v[35:36], v39, s[8:9] offset:792
	global_load_dwordx2 v[37:38], v[33:34], off offset:792
	ds_read_b32 v14, v24
	ds_read_b32 v23, v23
	;; [unrolled: 1-line block ×6, first 2 shown]
	s_waitcnt lgkmcnt(5)
	v_lshrrev_b32_e32 v33, 16, v14
	ds_read_b32 v43, v1 offset:5096
	v_cmp_ne_u32_e32 vcc, 0, v0
	s_waitcnt vmcnt(3)
	v_mul_f16_sdwa v34, v25, v33 dst_sel:DWORD dst_unused:UNUSED_PAD src0_sel:WORD_1 src1_sel:DWORD
	v_fma_f16 v34, v25, v14, v34
	v_mul_f16_sdwa v14, v25, v14 dst_sel:DWORD dst_unused:UNUSED_PAD src0_sel:WORD_1 src1_sel:DWORD
	v_fma_f16 v14, v25, v33, -v14
	s_waitcnt lgkmcnt(2)
	v_lshrrev_b32_e32 v25, 16, v20
	v_mul_f16_sdwa v33, v26, v25 dst_sel:DWORD dst_unused:UNUSED_PAD src0_sel:WORD_1 src1_sel:DWORD
	v_fma_f16 v33, v26, v20, v33
	v_mul_f16_sdwa v20, v26, v20 dst_sel:DWORD dst_unused:UNUSED_PAD src0_sel:WORD_1 src1_sel:DWORD
	v_fma_f16 v25, v26, v25, -v20
	ds_read2_b32 v[19:20], v19 offset0:46 offset1:144
	v_lshrrev_b32_e32 v26, 16, v22
	v_mul_f16_sdwa v39, v27, v26 dst_sel:DWORD dst_unused:UNUSED_PAD src0_sel:WORD_1 src1_sel:DWORD
	v_fma_f16 v39, v27, v22, v39
	v_mul_f16_sdwa v22, v27, v22 dst_sel:DWORD dst_unused:UNUSED_PAD src0_sel:WORD_1 src1_sel:DWORD
	v_fma_f16 v22, v27, v26, -v22
	s_waitcnt lgkmcnt(0)
	v_lshrrev_b32_e32 v26, 16, v20
	v_mul_f16_sdwa v27, v28, v20 dst_sel:DWORD dst_unused:UNUSED_PAD src0_sel:WORD_1 src1_sel:DWORD
	v_fma_f16 v27, v28, v26, -v27
	v_mul_f16_sdwa v26, v28, v26 dst_sel:DWORD dst_unused:UNUSED_PAD src0_sel:WORD_1 src1_sel:DWORD
	v_fma_f16 v26, v28, v20, v26
	v_lshrrev_b32_e32 v20, 16, v23
	s_waitcnt vmcnt(2)
	v_mul_f16_sdwa v28, v20, v29 dst_sel:DWORD dst_unused:UNUSED_PAD src0_sel:DWORD src1_sel:WORD_1
	v_fma_f16 v28, v23, v29, v28
	v_mul_f16_sdwa v23, v23, v29 dst_sel:DWORD dst_unused:UNUSED_PAD src0_sel:DWORD src1_sel:WORD_1
	v_fma_f16 v23, v20, v29, -v23
	v_lshrrev_b32_e32 v20, 16, v21
	v_mul_f16_sdwa v29, v20, v30 dst_sel:DWORD dst_unused:UNUSED_PAD src0_sel:DWORD src1_sel:WORD_1
	v_fma_f16 v29, v21, v30, v29
	v_mul_f16_sdwa v21, v21, v30 dst_sel:DWORD dst_unused:UNUSED_PAD src0_sel:DWORD src1_sel:WORD_1
	v_fma_f16 v30, v20, v30, -v21
	ds_read2_b32 v[20:21], v7 offset0:114 offset1:212
	v_lshrrev_b32_e32 v40, 16, v19
	v_mul_f16_sdwa v41, v40, v31 dst_sel:DWORD dst_unused:UNUSED_PAD src0_sel:DWORD src1_sel:WORD_1
	v_fma_f16 v41, v19, v31, v41
	v_mul_f16_sdwa v19, v19, v31 dst_sel:DWORD dst_unused:UNUSED_PAD src0_sel:DWORD src1_sel:WORD_1
	v_fma_f16 v31, v40, v31, -v19
	s_waitcnt lgkmcnt(0)
	v_lshrrev_b32_e32 v19, 16, v20
	v_mul_f16_sdwa v40, v20, v32 dst_sel:DWORD dst_unused:UNUSED_PAD src0_sel:DWORD src1_sel:WORD_1
	v_fma_f16 v40, v19, v32, -v40
	v_mul_f16_sdwa v19, v19, v32 dst_sel:DWORD dst_unused:UNUSED_PAD src0_sel:DWORD src1_sel:WORD_1
	v_fma_f16 v20, v20, v32, v19
	ds_read2_b32 v[18:19], v18 offset0:54 offset1:152
	v_lshrrev_b32_e32 v32, 16, v21
	s_waitcnt vmcnt(1)
	v_mul_f16_sdwa v42, v35, v32 dst_sel:DWORD dst_unused:UNUSED_PAD src0_sel:WORD_1 src1_sel:DWORD
	v_fma_f16 v42, v35, v21, v42
	v_mul_f16_sdwa v21, v35, v21 dst_sel:DWORD dst_unused:UNUSED_PAD src0_sel:WORD_1 src1_sel:DWORD
	v_fma_f16 v21, v35, v32, -v21
	s_waitcnt lgkmcnt(0)
	v_lshrrev_b32_e32 v32, 16, v19
	v_mul_f16_sdwa v35, v19, v36 dst_sel:DWORD dst_unused:UNUSED_PAD src0_sel:DWORD src1_sel:WORD_1
	v_fma_f16 v35, v32, v36, -v35
	v_mul_f16_sdwa v32, v32, v36 dst_sel:DWORD dst_unused:UNUSED_PAD src0_sel:DWORD src1_sel:WORD_1
	v_fma_f16 v19, v19, v36, v32
	v_lshrrev_b32_e32 v32, 16, v18
	s_waitcnt vmcnt(0)
	v_mul_f16_sdwa v36, v32, v37 dst_sel:DWORD dst_unused:UNUSED_PAD src0_sel:DWORD src1_sel:WORD_1
	v_fma_f16 v36, v18, v37, v36
	v_mul_f16_sdwa v18, v18, v37 dst_sel:DWORD dst_unused:UNUSED_PAD src0_sel:DWORD src1_sel:WORD_1
	v_fma_f16 v18, v32, v37, -v18
	ds_read_b32 v32, v16
	v_lshrrev_b32_e32 v37, 16, v43
	v_mul_f16_sdwa v44, v37, v38 dst_sel:DWORD dst_unused:UNUSED_PAD src0_sel:DWORD src1_sel:WORD_1
	v_fma_f16 v44, v43, v38, v44
	v_mul_f16_sdwa v43, v43, v38 dst_sel:DWORD dst_unused:UNUSED_PAD src0_sel:DWORD src1_sel:WORD_1
	v_fma_f16 v37, v37, v38, -v43
	v_add_f16_e32 v38, v34, v19
	v_sub_f16_e32 v19, v34, v19
	v_add_f16_e32 v34, v14, v35
	v_sub_f16_e32 v14, v14, v35
	;; [unrolled: 2-line block ×7, first 2 shown]
	v_sub_f16_e32 v38, v38, v25
	v_sub_f16_e32 v35, v25, v35
	v_add_f16_e32 v25, v25, v27
	v_add_f16_e32 v27, v42, v34
	v_sub_f16_e32 v45, v42, v34
	v_sub_f16_e32 v34, v34, v39
	v_sub_f16_e32 v42, v39, v42
	v_add_f16_e32 v27, v39, v27
	v_add_f16_e32 v39, v26, v33
	v_sub_f16_e32 v46, v26, v33
	;; [unrolled: 5-line block ×3, first 2 shown]
	v_sub_f16_e32 v21, v21, v14
	v_sub_f16_e32 v22, v14, v22
	v_add_f16_e32 v14, v39, v14
	s_waitcnt lgkmcnt(0)
	v_add_f16_e32 v39, v25, v32
	v_add_f16_sdwa v32, v27, v32 dst_sel:DWORD dst_unused:UNUSED_PAD src0_sel:DWORD src1_sel:WORD_1
	v_mul_f16_e32 v38, 0x3a52, v38
	v_mul_f16_e32 v34, 0x3a52, v34
	;; [unrolled: 1-line block ×6, first 2 shown]
	v_fma_f16 v25, v25, s6, v39
	v_fma_f16 v27, v27, s6, v32
	v_fma_f16 v48, v43, s10, -v48
	v_fma_f16 v49, v45, s10, -v49
	;; [unrolled: 1-line block ×6, first 2 shown]
	v_mul_f16_e32 v46, 0x3846, v46
	v_mul_f16_e32 v47, 0x3846, v47
	v_add_f16_e32 v43, v43, v25
	v_add_f16_e32 v45, v45, v27
	v_fma_f16 v50, v19, s5, v50
	v_fma_f16 v51, v14, s5, v51
	v_fma_f16 v33, v33, s7, -v46
	v_fma_f16 v21, v21, s7, -v47
	v_add_f16_e32 v52, v51, v43
	v_sub_f16_e32 v53, v45, v50
	v_add_f16_e32 v48, v48, v25
	v_add_f16_e32 v49, v49, v27
	v_fma_f16 v33, v19, s5, v33
	v_fma_f16 v21, v14, s5, v21
	v_pack_b32_f16 v52, v52, v53
	v_sub_f16_e32 v53, v48, v21
	v_add_f16_e32 v54, v33, v49
	v_pack_b32_f16 v53, v53, v54
	s_barrier
	ds_write2_b32 v9, v52, v53 offset0:8 offset1:204
	v_add_f16_e32 v9, v21, v48
	v_sub_f16_e32 v21, v49, v33
	v_sub_f16_e32 v33, v43, v51
	v_add_f16_e32 v43, v50, v45
	v_pack_b32_f16 v9, v9, v21
	v_pack_b32_f16 v21, v33, v43
	ds_write2_b32 v7, v9, v21 offset0:16 offset1:212
	v_fma_f16 v7, v35, s2, v38
	v_fma_f16 v9, v42, s2, v34
	;; [unrolled: 1-line block ×4, first 2 shown]
	v_add_f16_e32 v7, v7, v25
	v_add_f16_e32 v9, v9, v27
	v_fma_f16 v19, v19, s5, v21
	v_fma_f16 v14, v14, s5, v22
	v_add_f16_e32 v22, v14, v7
	v_sub_f16_e32 v25, v9, v19
	v_sub_f16_e32 v7, v7, v14
	v_add_f16_e32 v9, v19, v9
	v_pack_b32_f16 v21, v39, v32
	v_pack_b32_f16 v22, v22, v25
	;; [unrolled: 1-line block ×3, first 2 shown]
	ds_write2_b32 v1, v21, v22 offset1:196
	ds_write_b32 v1, v7 offset:4704
	v_add_f16_e32 v1, v28, v44
	v_add_f16_e32 v19, v29, v36
	;; [unrolled: 1-line block ×3, first 2 shown]
	v_sub_f16_e32 v14, v23, v37
	v_add_f16_e32 v22, v30, v18
	v_add_f16_e32 v23, v41, v20
	;; [unrolled: 1-line block ×3, first 2 shown]
	v_sub_f16_e32 v7, v28, v44
	v_sub_f16_e32 v21, v29, v36
	;; [unrolled: 1-line block ×3, first 2 shown]
	v_add_f16_e32 v25, v31, v40
	v_sub_f16_e32 v28, v19, v1
	v_sub_f16_e32 v1, v1, v23
	;; [unrolled: 1-line block ×3, first 2 shown]
	v_add_f16_e32 v23, v23, v27
	v_add_f16_e32 v27, v22, v9
	v_sub_f16_e32 v18, v30, v18
	v_sub_f16_e32 v26, v40, v31
	;; [unrolled: 1-line block ×5, first 2 shown]
	v_add_f16_e32 v25, v25, v27
	v_add_f16_e32 v27, v20, v21
	v_sub_f16_e32 v30, v20, v21
	v_sub_f16_e32 v20, v7, v20
	;; [unrolled: 1-line block ×3, first 2 shown]
	v_add_f16_e32 v7, v27, v7
	v_add_f16_e32 v27, v26, v18
	v_sub_f16_e32 v31, v26, v18
	v_sub_f16_e32 v18, v18, v14
	;; [unrolled: 1-line block ×3, first 2 shown]
	v_add_f16_e32 v14, v27, v14
	v_add_f16_e32 v27, v23, v24
	v_add_f16_sdwa v24, v25, v24 dst_sel:DWORD dst_unused:UNUSED_PAD src0_sel:DWORD src1_sel:WORD_1
	v_mul_f16_e32 v1, 0x3a52, v1
	v_mul_f16_e32 v9, 0x3a52, v9
	;; [unrolled: 1-line block ×6, first 2 shown]
	v_fma_f16 v23, v23, s6, v27
	v_fma_f16 v25, v25, s6, v24
	v_fma_f16 v32, v28, s10, -v32
	v_fma_f16 v33, v29, s10, -v33
	;; [unrolled: 1-line block ×6, first 2 shown]
	v_mul_f16_e32 v30, 0x3846, v30
	v_mul_f16_e32 v31, 0x3846, v31
	v_add_f16_e32 v28, v28, v23
	v_add_f16_e32 v29, v29, v25
	v_fma_f16 v34, v7, s5, v34
	v_fma_f16 v35, v14, s5, v35
	v_fma_f16 v21, v21, s7, -v30
	v_fma_f16 v18, v18, s7, -v31
	v_add_f16_e32 v36, v35, v28
	v_sub_f16_e32 v37, v29, v34
	v_add_f16_e32 v32, v32, v23
	v_add_f16_e32 v33, v33, v25
	v_fma_f16 v21, v7, s5, v21
	v_fma_f16 v18, v14, s5, v18
	v_pack_b32_f16 v36, v36, v37
	v_sub_f16_e32 v37, v32, v18
	v_add_f16_e32 v38, v21, v33
	v_add_f16_e32 v18, v18, v32
	v_sub_f16_e32 v21, v33, v21
	v_sub_f16_e32 v28, v28, v35
	v_add_f16_e32 v29, v34, v29
	v_pack_b32_f16 v18, v18, v21
	v_pack_b32_f16 v21, v28, v29
	v_add_u32_e32 v28, 0xc00, v11
	ds_write2_b32 v28, v18, v21 offset0:16 offset1:212
	v_fma_f16 v1, v19, s2, v1
	v_fma_f16 v9, v22, s2, v9
	v_fma_f16 v18, v20, s3, v30
	v_fma_f16 v19, v26, s3, v31
	v_add_f16_e32 v1, v1, v23
	v_add_f16_e32 v9, v9, v25
	v_fma_f16 v7, v7, s5, v18
	v_fma_f16 v14, v14, s5, v19
	v_add_f16_e32 v19, v14, v1
	v_sub_f16_e32 v20, v9, v7
	v_sub_f16_e32 v1, v1, v14
	v_add_f16_e32 v7, v7, v9
	v_pack_b32_f16 v37, v37, v38
	v_add_u32_e32 v38, 0x600, v11
	v_pack_b32_f16 v18, v27, v24
	v_pack_b32_f16 v19, v19, v20
	;; [unrolled: 1-line block ×3, first 2 shown]
	ds_write2_b32 v38, v36, v37 offset0:8 offset1:204
	ds_write2_b32 v11, v18, v19 offset1:196
	ds_write_b32 v11, v1 offset:4704
	s_waitcnt lgkmcnt(0)
	s_barrier
	ds_read_b32 v11, v16
	s_add_u32 s5, s8, 0x1568
	s_addc_u32 s6, s9, 0
	v_sub_u32_e32 v18, v17, v5
                                        ; implicit-def: $vgpr7
                                        ; implicit-def: $vgpr1
                                        ; implicit-def: $vgpr9
	s_and_saveexec_b64 s[2:3], vcc
	s_xor_b64 s[2:3], exec, s[2:3]
	s_cbranch_execz .LBB0_15
; %bb.14:
	v_mov_b32_e32 v1, v15
	v_lshlrev_b64 v[14:15], 2, v[0:1]
	v_mov_b32_e32 v1, s6
	v_add_co_u32_e32 v14, vcc, s5, v14
	v_addc_co_u32_e32 v15, vcc, v1, v15, vcc
	global_load_dword v1, v[14:15], off
	ds_read_b32 v5, v18 offset:5488
	s_waitcnt lgkmcnt(0)
	v_pk_add_f16 v7, v11, v5 neg_lo:[0,1] neg_hi:[0,1]
	v_pk_add_f16 v5, v5, v11
	v_bfi_b32 v9, s4, v7, v5
	v_bfi_b32 v5, s4, v5, v7
	v_pk_mul_f16 v7, v9, 0.5 op_sel_hi:[1,0]
	v_pk_mul_f16 v9, v5, 0.5 op_sel_hi:[1,0]
	s_waitcnt vmcnt(0)
	v_pk_mul_f16 v11, v1, v7 op_sel:[1,0]
	v_pk_mul_f16 v14, v1, v7 op_sel_hi:[0,1]
	v_pk_fma_f16 v1, v5, 0.5, v11 op_sel_hi:[1,0,1]
	v_sub_f16_e32 v5, v9, v11
	v_sub_f16_sdwa v9, v11, v9 dst_sel:DWORD dst_unused:UNUSED_PAD src0_sel:WORD_1 src1_sel:WORD_1
	v_pk_add_f16 v7, v1, v14 op_sel:[0,1] op_sel_hi:[1,0]
	v_pk_add_f16 v11, v1, v14 op_sel:[0,1] op_sel_hi:[1,0] neg_lo:[0,1] neg_hi:[0,1]
	v_sub_f16_sdwa v1, v5, v14 dst_sel:DWORD dst_unused:UNUSED_PAD src0_sel:DWORD src1_sel:WORD_1
	v_bfi_b32 v7, s4, v7, v11
	v_sub_f16_e32 v9, v9, v14
                                        ; implicit-def: $vgpr11
.LBB0_15:
	s_andn2_saveexec_b64 s[2:3], s[2:3]
	s_cbranch_execz .LBB0_17
; %bb.16:
	ds_read_u16 v5, v17 offset:2746
	s_waitcnt lgkmcnt(1)
	v_alignbit_b32 v7, s0, v11, 16
	v_pk_add_f16 v7, v7, v11
	v_sub_f16_sdwa v1, v11, v11 dst_sel:DWORD dst_unused:UNUSED_PAD src0_sel:DWORD src1_sel:WORD_1
	v_pack_b32_f16 v7, v7, 0
	s_waitcnt lgkmcnt(0)
	v_xor_b32_e32 v5, 0x8000, v5
	v_mov_b32_e32 v9, 0
	ds_write_b16 v17, v5 offset:2746
.LBB0_17:
	s_or_b64 exec, exec, s[2:3]
	v_mov_b32_e32 v5, 0
	v_lshlrev_b64 v[14:15], 2, v[4:5]
	s_waitcnt lgkmcnt(0)
	v_mov_b32_e32 v11, s6
	v_add_co_u32_e32 v14, vcc, s5, v14
	v_addc_co_u32_e32 v15, vcc, v11, v15, vcc
	global_load_dword v23, v[14:15], off
	v_mov_b32_e32 v14, v5
	v_lshlrev_b64 v[14:15], 2, v[13:14]
	v_mov_b32_e32 v24, s6
	v_add_co_u32_e32 v14, vcc, s5, v14
	v_addc_co_u32_e32 v15, vcc, v11, v15, vcc
	global_load_dword v15, v[14:15], off
	ds_write_b16 v18, v9 offset:5490
	ds_write_b32 v16, v7
	ds_write_b16 v18, v1 offset:5488
	v_lshl_add_u32 v1, v4, 2, v17
	v_lshl_add_u32 v4, v13, 2, v17
	v_mov_b32_e32 v13, v5
	v_lshlrev_b64 v[13:14], 2, v[12:13]
	v_mov_b32_e32 v7, s6
	v_add_co_u32_e32 v13, vcc, s5, v13
	v_addc_co_u32_e32 v14, vcc, v7, v14, vcc
	global_load_dword v25, v[13:14], off
	v_mov_b32_e32 v11, v5
	v_lshlrev_b64 v[13:14], 2, v[10:11]
	v_mov_b32_e32 v9, v5
	v_lshlrev_b64 v[19:20], 2, v[8:9]
	v_add_co_u32_e32 v13, vcc, s5, v13
	v_mov_b32_e32 v7, v5
	v_addc_co_u32_e32 v14, vcc, v24, v14, vcc
	v_mov_b32_e32 v26, s6
	v_lshlrev_b64 v[21:22], 2, v[6:7]
	v_add_co_u32_e32 v19, vcc, s5, v19
	v_addc_co_u32_e32 v20, vcc, v26, v20, vcc
	v_mov_b32_e32 v27, s6
	v_add_co_u32_e32 v21, vcc, s5, v21
	ds_read_b32 v28, v1
	ds_read_b32 v29, v18 offset:5096
	v_addc_co_u32_e32 v22, vcc, v27, v22, vcc
	global_load_dword v7, v[13:14], off
	global_load_dword v9, v[19:20], off
	;; [unrolled: 1-line block ×3, first 2 shown]
	s_mov_b32 s2, 0xffff
	s_waitcnt lgkmcnt(0)
	v_pk_add_f16 v13, v28, v29 neg_lo:[0,1] neg_hi:[0,1]
	v_pk_add_f16 v14, v28, v29
	v_bfi_b32 v19, s2, v13, v14
	v_bfi_b32 v13, s2, v14, v13
	v_pk_mul_f16 v14, v19, 0.5 op_sel_hi:[1,0]
	v_pk_mul_f16 v13, v13, 0.5 op_sel_hi:[1,0]
	v_lshl_add_u32 v12, v12, 2, v17
	s_waitcnt vmcnt(5)
	v_pk_fma_f16 v19, v23, v14, v13 op_sel:[1,0,0]
	v_pk_mul_f16 v20, v23, v14 op_sel_hi:[0,1]
	v_pk_fma_f16 v21, v23, v14, v13 op_sel:[1,0,0] neg_lo:[1,0,0] neg_hi:[1,0,0]
	v_pk_fma_f16 v13, v23, v14, v13 op_sel:[1,0,0] neg_lo:[0,0,1] neg_hi:[0,0,1]
	v_pk_add_f16 v14, v19, v20 op_sel:[0,1] op_sel_hi:[1,0]
	v_pk_add_f16 v19, v19, v20 op_sel:[0,1] op_sel_hi:[1,0] neg_lo:[0,1] neg_hi:[0,1]
	v_pk_add_f16 v21, v21, v20 op_sel:[0,1] op_sel_hi:[1,0] neg_lo:[0,1] neg_hi:[0,1]
	v_pk_add_f16 v13, v13, v20 op_sel:[0,1] op_sel_hi:[1,0] neg_lo:[0,1] neg_hi:[0,1]
	v_bfi_b32 v14, s2, v14, v19
	v_bfi_b32 v13, s2, v21, v13
	ds_write_b32 v1, v14
	ds_write_b32 v18, v13 offset:5096
	ds_read_b32 v1, v4
	ds_read_b32 v13, v18 offset:4704
	s_waitcnt lgkmcnt(0)
	v_pk_add_f16 v14, v1, v13 neg_lo:[0,1] neg_hi:[0,1]
	v_pk_add_f16 v1, v1, v13
	v_bfi_b32 v13, s2, v14, v1
	v_bfi_b32 v1, s2, v1, v14
	v_pk_mul_f16 v13, v13, 0.5 op_sel_hi:[1,0]
	v_pk_mul_f16 v1, v1, 0.5 op_sel_hi:[1,0]
	s_waitcnt vmcnt(4)
	v_pk_fma_f16 v14, v15, v13, v1 op_sel:[1,0,0]
	v_pk_mul_f16 v19, v15, v13 op_sel_hi:[0,1]
	v_pk_fma_f16 v20, v15, v13, v1 op_sel:[1,0,0] neg_lo:[1,0,0] neg_hi:[1,0,0]
	v_pk_fma_f16 v1, v15, v13, v1 op_sel:[1,0,0] neg_lo:[0,0,1] neg_hi:[0,0,1]
	v_pk_add_f16 v13, v14, v19 op_sel:[0,1] op_sel_hi:[1,0]
	v_pk_add_f16 v14, v14, v19 op_sel:[0,1] op_sel_hi:[1,0] neg_lo:[0,1] neg_hi:[0,1]
	v_pk_add_f16 v15, v20, v19 op_sel:[0,1] op_sel_hi:[1,0] neg_lo:[0,1] neg_hi:[0,1]
	;; [unrolled: 1-line block ×3, first 2 shown]
	v_bfi_b32 v13, s2, v13, v14
	v_bfi_b32 v1, s2, v15, v1
	ds_write_b32 v4, v13
	ds_write_b32 v18, v1 offset:4704
	ds_read_b32 v1, v12
	ds_read_b32 v4, v18 offset:4312
	s_waitcnt lgkmcnt(0)
	v_pk_add_f16 v13, v1, v4 neg_lo:[0,1] neg_hi:[0,1]
	v_pk_add_f16 v1, v1, v4
	v_bfi_b32 v4, s2, v13, v1
	v_bfi_b32 v1, s2, v1, v13
	v_pk_mul_f16 v4, v4, 0.5 op_sel_hi:[1,0]
	v_pk_mul_f16 v1, v1, 0.5 op_sel_hi:[1,0]
	s_waitcnt vmcnt(3)
	v_pk_fma_f16 v13, v25, v4, v1 op_sel:[1,0,0]
	v_pk_mul_f16 v14, v25, v4 op_sel_hi:[0,1]
	v_pk_fma_f16 v15, v25, v4, v1 op_sel:[1,0,0] neg_lo:[1,0,0] neg_hi:[1,0,0]
	v_pk_fma_f16 v1, v25, v4, v1 op_sel:[1,0,0] neg_lo:[0,0,1] neg_hi:[0,0,1]
	v_pk_add_f16 v4, v13, v14 op_sel:[0,1] op_sel_hi:[1,0]
	v_pk_add_f16 v13, v13, v14 op_sel:[0,1] op_sel_hi:[1,0] neg_lo:[0,1] neg_hi:[0,1]
	v_pk_add_f16 v15, v15, v14 op_sel:[0,1] op_sel_hi:[1,0] neg_lo:[0,1] neg_hi:[0,1]
	;; [unrolled: 1-line block ×3, first 2 shown]
	v_bfi_b32 v4, s2, v4, v13
	v_bfi_b32 v1, s2, v15, v1
	ds_write_b32 v12, v4
	ds_write_b32 v18, v1 offset:4312
	v_lshl_add_u32 v1, v10, 2, v17
	ds_read_b32 v4, v1
	ds_read_b32 v10, v18 offset:3920
	s_waitcnt lgkmcnt(0)
	v_pk_add_f16 v12, v4, v10 neg_lo:[0,1] neg_hi:[0,1]
	v_pk_add_f16 v4, v4, v10
	v_bfi_b32 v10, s2, v12, v4
	v_bfi_b32 v4, s2, v4, v12
	v_pk_mul_f16 v10, v10, 0.5 op_sel_hi:[1,0]
	v_pk_mul_f16 v4, v4, 0.5 op_sel_hi:[1,0]
	s_waitcnt vmcnt(2)
	v_pk_fma_f16 v12, v7, v10, v4 op_sel:[1,0,0]
	v_pk_mul_f16 v13, v7, v10 op_sel_hi:[0,1]
	v_pk_add_f16 v14, v12, v13 op_sel:[0,1] op_sel_hi:[1,0]
	v_pk_add_f16 v12, v12, v13 op_sel:[0,1] op_sel_hi:[1,0] neg_lo:[0,1] neg_hi:[0,1]
	v_bfi_b32 v12, s2, v14, v12
	v_pk_fma_f16 v14, v7, v10, v4 op_sel:[1,0,0] neg_lo:[1,0,0] neg_hi:[1,0,0]
	v_pk_fma_f16 v4, v7, v10, v4 op_sel:[1,0,0] neg_lo:[0,0,1] neg_hi:[0,0,1]
	v_pk_add_f16 v14, v14, v13 op_sel:[0,1] op_sel_hi:[1,0] neg_lo:[0,1] neg_hi:[0,1]
	v_pk_add_f16 v4, v4, v13 op_sel:[0,1] op_sel_hi:[1,0] neg_lo:[0,1] neg_hi:[0,1]
	ds_write_b32 v1, v12
	v_bfi_b32 v1, s2, v14, v4
	ds_write_b32 v18, v1 offset:3920
	v_lshl_add_u32 v1, v8, 2, v17
	ds_read_b32 v4, v1
	ds_read_b32 v7, v18 offset:3528
	s_waitcnt lgkmcnt(0)
	v_pk_add_f16 v8, v4, v7 neg_lo:[0,1] neg_hi:[0,1]
	v_pk_add_f16 v4, v4, v7
	v_bfi_b32 v7, s2, v8, v4
	v_bfi_b32 v4, s2, v4, v8
	v_pk_mul_f16 v7, v7, 0.5 op_sel_hi:[1,0]
	v_pk_mul_f16 v4, v4, 0.5 op_sel_hi:[1,0]
	s_waitcnt vmcnt(1)
	v_pk_fma_f16 v8, v9, v7, v4 op_sel:[1,0,0]
	v_pk_mul_f16 v10, v9, v7 op_sel_hi:[0,1]
	v_pk_add_f16 v12, v8, v10 op_sel:[0,1] op_sel_hi:[1,0]
	v_pk_add_f16 v8, v8, v10 op_sel:[0,1] op_sel_hi:[1,0] neg_lo:[0,1] neg_hi:[0,1]
	v_bfi_b32 v8, s2, v12, v8
	v_pk_fma_f16 v12, v9, v7, v4 op_sel:[1,0,0] neg_lo:[1,0,0] neg_hi:[1,0,0]
	v_pk_fma_f16 v4, v9, v7, v4 op_sel:[1,0,0] neg_lo:[0,0,1] neg_hi:[0,0,1]
	v_pk_add_f16 v12, v12, v10 op_sel:[0,1] op_sel_hi:[1,0] neg_lo:[0,1] neg_hi:[0,1]
	v_pk_add_f16 v4, v4, v10 op_sel:[0,1] op_sel_hi:[1,0] neg_lo:[0,1] neg_hi:[0,1]
	ds_write_b32 v1, v8
	v_bfi_b32 v1, s2, v12, v4
	;; [unrolled: 23-line block ×3, first 2 shown]
	ds_write_b32 v18, v1 offset:3136
	s_waitcnt lgkmcnt(0)
	s_barrier
	s_and_saveexec_b64 s[2:3], s[0:1]
	s_cbranch_execz .LBB0_20
; %bb.18:
	v_mov_b32_e32 v1, v5
	ds_read2_b32 v[5:6], v16 offset1:98
	v_mov_b32_e32 v7, s13
	v_add_co_u32_e32 v4, vcc, s12, v2
	v_addc_co_u32_e32 v2, vcc, v7, v3, vcc
	v_lshlrev_b64 v[7:8], 2, v[0:1]
	v_add_u32_e32 v1, 0x200, v16
	ds_read2_b32 v[9:10], v1 offset0:68 offset1:166
	v_add_co_u32_e32 v7, vcc, v4, v7
	v_add_u32_e32 v1, 0x400, v16
	v_addc_co_u32_e32 v8, vcc, v2, v8, vcc
	ds_read2_b32 v[11:12], v1 offset0:136 offset1:234
	s_waitcnt lgkmcnt(2)
	global_store_dword v[7:8], v5, off
	global_store_dword v[7:8], v6, off offset:392
	s_waitcnt lgkmcnt(1)
	global_store_dword v[7:8], v9, off offset:784
	global_store_dword v[7:8], v10, off offset:1176
	s_waitcnt lgkmcnt(0)
	global_store_dword v[7:8], v11, off offset:1568
	global_store_dword v[7:8], v12, off offset:1960
	v_add_u32_e32 v1, 0x800, v16
	ds_read2_b32 v[5:6], v1 offset0:76 offset1:174
	v_add_u32_e32 v1, 0xc00, v16
	ds_read2_b32 v[9:10], v1 offset0:16 offset1:114
	v_add_u32_e32 v1, 0xe00, v16
	ds_read2_b32 v[11:12], v1 offset0:84 offset1:182
	s_waitcnt lgkmcnt(2)
	global_store_dword v[7:8], v5, off offset:2352
	global_store_dword v[7:8], v6, off offset:2744
	s_waitcnt lgkmcnt(1)
	global_store_dword v[7:8], v9, off offset:3136
	global_store_dword v[7:8], v10, off offset:3528
	s_waitcnt lgkmcnt(0)
	global_store_dword v[7:8], v11, off offset:3920
	v_add_u32_e32 v1, 0x1000, v16
	ds_read2_b32 v[9:10], v1 offset0:152 offset1:250
	v_add_co_u32_e32 v5, vcc, 0x1000, v7
	v_addc_co_u32_e32 v6, vcc, 0, v8, vcc
	s_movk_i32 s0, 0x61
	v_cmp_eq_u32_e32 vcc, s0, v0
	global_store_dword v[5:6], v12, off offset:216
	s_waitcnt lgkmcnt(0)
	global_store_dword v[5:6], v9, off offset:608
	global_store_dword v[5:6], v10, off offset:1000
	s_and_b64 exec, exec, vcc
	s_cbranch_execz .LBB0_20
; %bb.19:
	ds_read_b32 v3, v16 offset:5100
	v_add_co_u32_e32 v0, vcc, 0x1000, v4
	v_addc_co_u32_e32 v1, vcc, 0, v2, vcc
	s_waitcnt lgkmcnt(0)
	global_store_dword v[0:1], v3, off offset:1392
.LBB0_20:
	s_endpgm
	.section	.rodata,"a",@progbits
	.p2align	6, 0x0
	.amdhsa_kernel fft_rtc_back_len1372_factors_2_2_7_7_7_wgs_196_tpt_98_halfLds_half_ip_CI_unitstride_sbrr_R2C_dirReg
		.amdhsa_group_segment_fixed_size 0
		.amdhsa_private_segment_fixed_size 0
		.amdhsa_kernarg_size 88
		.amdhsa_user_sgpr_count 6
		.amdhsa_user_sgpr_private_segment_buffer 1
		.amdhsa_user_sgpr_dispatch_ptr 0
		.amdhsa_user_sgpr_queue_ptr 0
		.amdhsa_user_sgpr_kernarg_segment_ptr 1
		.amdhsa_user_sgpr_dispatch_id 0
		.amdhsa_user_sgpr_flat_scratch_init 0
		.amdhsa_user_sgpr_private_segment_size 0
		.amdhsa_uses_dynamic_stack 0
		.amdhsa_system_sgpr_private_segment_wavefront_offset 0
		.amdhsa_system_sgpr_workgroup_id_x 1
		.amdhsa_system_sgpr_workgroup_id_y 0
		.amdhsa_system_sgpr_workgroup_id_z 0
		.amdhsa_system_sgpr_workgroup_info 0
		.amdhsa_system_vgpr_workitem_id 0
		.amdhsa_next_free_vgpr 68
		.amdhsa_next_free_sgpr 22
		.amdhsa_reserve_vcc 1
		.amdhsa_reserve_flat_scratch 0
		.amdhsa_float_round_mode_32 0
		.amdhsa_float_round_mode_16_64 0
		.amdhsa_float_denorm_mode_32 3
		.amdhsa_float_denorm_mode_16_64 3
		.amdhsa_dx10_clamp 1
		.amdhsa_ieee_mode 1
		.amdhsa_fp16_overflow 0
		.amdhsa_exception_fp_ieee_invalid_op 0
		.amdhsa_exception_fp_denorm_src 0
		.amdhsa_exception_fp_ieee_div_zero 0
		.amdhsa_exception_fp_ieee_overflow 0
		.amdhsa_exception_fp_ieee_underflow 0
		.amdhsa_exception_fp_ieee_inexact 0
		.amdhsa_exception_int_div_zero 0
	.end_amdhsa_kernel
	.text
.Lfunc_end0:
	.size	fft_rtc_back_len1372_factors_2_2_7_7_7_wgs_196_tpt_98_halfLds_half_ip_CI_unitstride_sbrr_R2C_dirReg, .Lfunc_end0-fft_rtc_back_len1372_factors_2_2_7_7_7_wgs_196_tpt_98_halfLds_half_ip_CI_unitstride_sbrr_R2C_dirReg
                                        ; -- End function
	.section	.AMDGPU.csdata,"",@progbits
; Kernel info:
; codeLenInByte = 9864
; NumSgprs: 26
; NumVgprs: 68
; ScratchSize: 0
; MemoryBound: 0
; FloatMode: 240
; IeeeMode: 1
; LDSByteSize: 0 bytes/workgroup (compile time only)
; SGPRBlocks: 3
; VGPRBlocks: 16
; NumSGPRsForWavesPerEU: 26
; NumVGPRsForWavesPerEU: 68
; Occupancy: 3
; WaveLimiterHint : 1
; COMPUTE_PGM_RSRC2:SCRATCH_EN: 0
; COMPUTE_PGM_RSRC2:USER_SGPR: 6
; COMPUTE_PGM_RSRC2:TRAP_HANDLER: 0
; COMPUTE_PGM_RSRC2:TGID_X_EN: 1
; COMPUTE_PGM_RSRC2:TGID_Y_EN: 0
; COMPUTE_PGM_RSRC2:TGID_Z_EN: 0
; COMPUTE_PGM_RSRC2:TIDIG_COMP_CNT: 0
	.type	__hip_cuid_71faea615f5063d,@object ; @__hip_cuid_71faea615f5063d
	.section	.bss,"aw",@nobits
	.globl	__hip_cuid_71faea615f5063d
__hip_cuid_71faea615f5063d:
	.byte	0                               ; 0x0
	.size	__hip_cuid_71faea615f5063d, 1

	.ident	"AMD clang version 19.0.0git (https://github.com/RadeonOpenCompute/llvm-project roc-6.4.0 25133 c7fe45cf4b819c5991fe208aaa96edf142730f1d)"
	.section	".note.GNU-stack","",@progbits
	.addrsig
	.addrsig_sym __hip_cuid_71faea615f5063d
	.amdgpu_metadata
---
amdhsa.kernels:
  - .args:
      - .actual_access:  read_only
        .address_space:  global
        .offset:         0
        .size:           8
        .value_kind:     global_buffer
      - .offset:         8
        .size:           8
        .value_kind:     by_value
      - .actual_access:  read_only
        .address_space:  global
        .offset:         16
        .size:           8
        .value_kind:     global_buffer
      - .actual_access:  read_only
        .address_space:  global
        .offset:         24
        .size:           8
        .value_kind:     global_buffer
      - .offset:         32
        .size:           8
        .value_kind:     by_value
      - .actual_access:  read_only
        .address_space:  global
        .offset:         40
        .size:           8
        .value_kind:     global_buffer
      - .actual_access:  read_only
        .address_space:  global
        .offset:         48
        .size:           8
        .value_kind:     global_buffer
      - .offset:         56
        .size:           4
        .value_kind:     by_value
      - .actual_access:  read_only
        .address_space:  global
        .offset:         64
        .size:           8
        .value_kind:     global_buffer
      - .actual_access:  read_only
        .address_space:  global
        .offset:         72
        .size:           8
        .value_kind:     global_buffer
      - .address_space:  global
        .offset:         80
        .size:           8
        .value_kind:     global_buffer
    .group_segment_fixed_size: 0
    .kernarg_segment_align: 8
    .kernarg_segment_size: 88
    .language:       OpenCL C
    .language_version:
      - 2
      - 0
    .max_flat_workgroup_size: 196
    .name:           fft_rtc_back_len1372_factors_2_2_7_7_7_wgs_196_tpt_98_halfLds_half_ip_CI_unitstride_sbrr_R2C_dirReg
    .private_segment_fixed_size: 0
    .sgpr_count:     26
    .sgpr_spill_count: 0
    .symbol:         fft_rtc_back_len1372_factors_2_2_7_7_7_wgs_196_tpt_98_halfLds_half_ip_CI_unitstride_sbrr_R2C_dirReg.kd
    .uniform_work_group_size: 1
    .uses_dynamic_stack: false
    .vgpr_count:     68
    .vgpr_spill_count: 0
    .wavefront_size: 64
amdhsa.target:   amdgcn-amd-amdhsa--gfx906
amdhsa.version:
  - 1
  - 2
...

	.end_amdgpu_metadata
